;; amdgpu-corpus repo=ROCm/rocFFT kind=compiled arch=gfx950 opt=O3
	.text
	.amdgcn_target "amdgcn-amd-amdhsa--gfx950"
	.amdhsa_code_object_version 6
	.protected	bluestein_single_fwd_len234_dim1_dp_op_CI_CI ; -- Begin function bluestein_single_fwd_len234_dim1_dp_op_CI_CI
	.globl	bluestein_single_fwd_len234_dim1_dp_op_CI_CI
	.p2align	8
	.type	bluestein_single_fwd_len234_dim1_dp_op_CI_CI,@function
bluestein_single_fwd_len234_dim1_dp_op_CI_CI: ; @bluestein_single_fwd_len234_dim1_dp_op_CI_CI
; %bb.0:
	s_load_dwordx4 s[8:11], s[0:1], 0x28
	v_mul_u32_u24_e32 v1, 0x9d9, v0
	v_lshrrev_b32_e32 v1, 16, v1
	v_mov_b32_e32 v233, 0
	v_lshl_add_u32 v134, s2, 1, v1
	v_mov_b32_e32 v135, v233
	s_waitcnt lgkmcnt(0)
	v_cmp_gt_u64_e32 vcc, s[8:9], v[134:135]
	s_and_saveexec_b64 s[2:3], vcc
	s_cbranch_execz .LBB0_23
; %bb.1:
	s_load_dwordx2 s[8:9], s[0:1], 0x0
	s_load_dwordx2 s[12:13], s[0:1], 0x38
	v_mul_lo_u16_e32 v2, 26, v1
	v_sub_u16_e32 v232, v0, v2
	v_and_b32_e32 v0, 1, v1
	v_mov_b32_e32 v1, 0xea
	v_cmp_eq_u32_e32 vcc, 1, v0
	v_lshlrev_b32_e32 v135, 4, v232
	s_nop 0
	v_cndmask_b32_e32 v230, 0, v1, vcc
	v_cmp_gt_u16_e32 vcc, 18, v232
	v_lshlrev_b32_e32 v231, 4, v230
	s_and_saveexec_b64 s[2:3], vcc
	s_cbranch_execz .LBB0_3
; %bb.2:
	s_load_dwordx2 s[4:5], s[0:1], 0x18
	v_mov_b32_e32 v0, s10
	v_mov_b32_e32 v1, s11
	;; [unrolled: 1-line block ×3, first 2 shown]
	v_lshl_add_u32 v108, v232, 4, v231
	s_waitcnt lgkmcnt(0)
	s_load_dwordx4 s[4:7], s[4:5], 0x0
	v_add_u32_e32 v109, v231, v135
	s_waitcnt lgkmcnt(0)
	v_mad_u64_u32 v[2:3], s[10:11], s6, v134, 0
	v_mad_u64_u32 v[4:5], s[10:11], s4, v232, 0
	v_mov_b32_e32 v6, v3
	v_mov_b32_e32 v8, v5
	v_mad_u64_u32 v[6:7], s[6:7], s7, v134, v[6:7]
	v_mov_b32_e32 v3, v6
	v_mad_u64_u32 v[6:7], s[6:7], s5, v232, v[8:9]
	v_mov_b32_e32 v5, v6
	v_lshl_add_u64 v[0:1], v[2:3], 4, v[0:1]
	v_lshl_add_u64 v[4:5], v[4:5], 4, v[0:1]
	v_mad_u64_u32 v[16:17], s[6:7], s4, v98, v[4:5]
	s_mulk_i32 s5, 0x120
	v_add_u32_e32 v17, s5, v17
	v_mad_u64_u32 v[28:29], s[6:7], s4, v98, v[16:17]
	v_add_u32_e32 v29, s5, v29
	v_mad_u64_u32 v[32:33], s[6:7], s4, v98, v[28:29]
	global_load_dwordx4 v[0:3], v[4:5], off
	v_add_u32_e32 v33, s5, v33
	global_load_dwordx4 v[4:7], v135, s[8:9]
	global_load_dwordx4 v[8:11], v135, s[8:9] offset:288
	global_load_dwordx4 v[12:15], v[16:17], off
	v_mad_u64_u32 v[44:45], s[6:7], s4, v98, v[32:33]
	v_add_u32_e32 v45, s5, v45
	global_load_dwordx4 v[16:19], v[28:29], off
	global_load_dwordx4 v[20:23], v135, s[8:9] offset:576
	global_load_dwordx4 v[24:27], v135, s[8:9] offset:864
	v_mad_u64_u32 v[48:49], s[6:7], s4, v98, v[44:45]
	global_load_dwordx4 v[28:31], v[32:33], off
	v_add_u32_e32 v49, s5, v49
	global_load_dwordx4 v[32:35], v[44:45], off
	global_load_dwordx4 v[36:39], v135, s[8:9] offset:1152
	global_load_dwordx4 v[40:43], v135, s[8:9] offset:1440
	v_mad_u64_u32 v[60:61], s[6:7], s4, v98, v[48:49]
	global_load_dwordx4 v[44:47], v[48:49], off
	v_add_u32_e32 v61, s5, v61
	v_mad_u64_u32 v[64:65], s[6:7], s4, v98, v[60:61]
	global_load_dwordx4 v[48:51], v[60:61], off
	global_load_dwordx4 v[52:55], v135, s[8:9] offset:1728
	global_load_dwordx4 v[56:59], v135, s[8:9] offset:2016
	v_add_u32_e32 v65, s5, v65
	global_load_dwordx4 v[60:63], v[64:65], off
	v_mad_u64_u32 v[76:77], s[6:7], s4, v98, v[64:65]
	v_add_u32_e32 v77, s5, v77
	v_mad_u64_u32 v[80:81], s[6:7], s4, v98, v[76:77]
	global_load_dwordx4 v[64:67], v[76:77], off
	global_load_dwordx4 v[68:71], v135, s[8:9] offset:2304
	global_load_dwordx4 v[72:75], v135, s[8:9] offset:2592
	v_add_u32_e32 v81, s5, v81
	global_load_dwordx4 v[76:79], v[80:81], off
	v_mad_u64_u32 v[92:93], s[6:7], s4, v98, v[80:81]
	;; [unrolled: 8-line block ×3, first 2 shown]
	v_add_u32_e32 v105, s5, v105
	global_load_dwordx4 v[96:99], v135, s[8:9] offset:3456
	global_load_dwordx4 v[100:103], v[104:105], off
	s_waitcnt vmcnt(24)
	v_mul_f64 v[106:107], v[0:1], v[6:7]
	v_mul_f64 v[104:105], v[2:3], v[6:7]
	v_fma_f64 v[106:107], v[2:3], v[4:5], -v[106:107]
	v_fmac_f64_e32 v[104:105], v[0:1], v[4:5]
	s_waitcnt vmcnt(22)
	v_mul_f64 v[0:1], v[14:15], v[10:11]
	v_mul_f64 v[2:3], v[12:13], v[10:11]
	v_fmac_f64_e32 v[0:1], v[12:13], v[8:9]
	v_fma_f64 v[2:3], v[14:15], v[8:9], -v[2:3]
	ds_write_b128 v108, v[104:107]
	s_waitcnt vmcnt(20)
	v_mul_f64 v[6:7], v[16:17], v[22:23]
	v_mul_f64 v[4:5], v[18:19], v[22:23]
	ds_write_b128 v109, v[0:3] offset:288
	s_waitcnt vmcnt(18)
	v_mul_f64 v[0:1], v[30:31], v[26:27]
	v_fma_f64 v[6:7], v[18:19], v[20:21], -v[6:7]
	v_fmac_f64_e32 v[4:5], v[16:17], v[20:21]
	v_mul_f64 v[2:3], v[28:29], v[26:27]
	v_fmac_f64_e32 v[0:1], v[28:29], v[24:25]
	s_waitcnt vmcnt(16)
	v_mul_f64 v[10:11], v[32:33], v[38:39]
	v_mul_f64 v[8:9], v[34:35], v[38:39]
	v_fma_f64 v[2:3], v[30:31], v[24:25], -v[2:3]
	v_fma_f64 v[10:11], v[34:35], v[36:37], -v[10:11]
	v_fmac_f64_e32 v[8:9], v[32:33], v[36:37]
	ds_write_b128 v109, v[4:7] offset:576
	ds_write_b128 v109, v[0:3] offset:864
	;; [unrolled: 1-line block ×3, first 2 shown]
	s_waitcnt vmcnt(14)
	v_mul_f64 v[0:1], v[44:45], v[42:43]
	v_fma_f64 v[2:3], v[46:47], v[40:41], -v[0:1]
	v_mul_f64 v[0:1], v[46:47], v[42:43]
	v_fmac_f64_e32 v[0:1], v[44:45], v[40:41]
	ds_write_b128 v109, v[0:3] offset:1440
	s_waitcnt vmcnt(12)
	v_mul_f64 v[0:1], v[50:51], v[54:55]
	v_mul_f64 v[2:3], v[48:49], v[54:55]
	v_fmac_f64_e32 v[0:1], v[48:49], v[52:53]
	v_fma_f64 v[2:3], v[50:51], v[52:53], -v[2:3]
	ds_write_b128 v109, v[0:3] offset:1728
	s_waitcnt vmcnt(10)
	v_mul_f64 v[0:1], v[62:63], v[58:59]
	v_mul_f64 v[2:3], v[60:61], v[58:59]
	v_fmac_f64_e32 v[0:1], v[60:61], v[56:57]
	v_fma_f64 v[2:3], v[62:63], v[56:57], -v[2:3]
	;; [unrolled: 6-line block ×7, first 2 shown]
	ds_write_b128 v109, v[0:3] offset:3456
.LBB0_3:
	s_or_b64 exec, exec, s[2:3]
	s_load_dwordx2 s[2:3], s[0:1], 0x20
	s_waitcnt lgkmcnt(0)
	; wave barrier
	s_waitcnt lgkmcnt(0)
                                        ; implicit-def: $vgpr12_vgpr13
                                        ; implicit-def: $vgpr16_vgpr17
                                        ; implicit-def: $vgpr20_vgpr21
                                        ; implicit-def: $vgpr24_vgpr25
                                        ; implicit-def: $vgpr28_vgpr29
                                        ; implicit-def: $vgpr32_vgpr33
                                        ; implicit-def: $vgpr36_vgpr37
                                        ; implicit-def: $vgpr40_vgpr41
                                        ; implicit-def: $vgpr44_vgpr45
                                        ; implicit-def: $vgpr48_vgpr49
                                        ; implicit-def: $vgpr52_vgpr53
                                        ; implicit-def: $vgpr56_vgpr57
                                        ; implicit-def: $vgpr60_vgpr61
	s_and_saveexec_b64 s[4:5], vcc
	s_cbranch_execz .LBB0_5
; %bb.4:
	v_lshlrev_b32_e32 v0, 4, v232
	v_lshl_add_u32 v0, v230, 4, v0
	ds_read_b128 v[12:15], v0
	ds_read_b128 v[16:19], v0 offset:288
	ds_read_b128 v[20:23], v0 offset:576
	;; [unrolled: 1-line block ×12, first 2 shown]
.LBB0_5:
	s_or_b64 exec, exec, s[4:5]
	s_mov_b32 s18, 0x4267c47c
	s_waitcnt lgkmcnt(0)
	v_add_f64 v[76:77], v[18:19], -v[62:63]
	s_mov_b32 s4, 0xe00740e9
	s_mov_b32 s19, 0xbfddbe06
	;; [unrolled: 1-line block ×3, first 2 shown]
	v_add_f64 v[90:91], v[16:17], v[60:61]
	v_add_f64 v[96:97], v[16:17], -v[60:61]
	s_mov_b32 s5, 0x3fec55a7
	v_mul_f64 v[186:187], v[76:77], s[18:19]
	s_mov_b32 s6, 0x1ea71119
	s_mov_b32 s17, 0xbfea55e2
	v_add_f64 v[120:121], v[22:23], -v[58:59]
	v_add_f64 v[98:99], v[18:19], v[62:63]
	v_mul_f64 v[82:83], v[96:97], s[18:19]
	v_fma_f64 v[0:1], s[4:5], v[90:91], v[186:187]
	s_mov_b32 s7, 0x3fe22d96
	v_add_f64 v[104:105], v[20:21], v[56:57]
	v_mul_f64 v[84:85], v[120:121], s[16:17]
	v_add_f64 v[112:113], v[20:21], -v[56:57]
	s_mov_b32 s26, 0x66966769
	v_add_f64 v[0:1], v[12:13], v[0:1]
	v_fma_f64 v[2:3], v[98:99], s[4:5], -v[82:83]
	v_fma_f64 v[4:5], s[6:7], v[104:105], v[84:85]
	v_add_f64 v[108:109], v[22:23], v[58:59]
	v_mul_f64 v[86:87], v[112:113], s[16:17]
	s_mov_b32 s14, 0xebaa3ed8
	s_mov_b32 s27, 0xbfefc445
	v_add_f64 v[160:161], v[26:27], -v[54:55]
	v_add_f64 v[2:3], v[14:15], v[2:3]
	v_add_f64 v[0:1], v[4:5], v[0:1]
	v_fma_f64 v[4:5], v[108:109], s[6:7], -v[86:87]
	s_mov_b32 s15, 0x3fbedb7d
	v_add_f64 v[114:115], v[24:25], v[52:53]
	v_mul_f64 v[88:89], v[160:161], s[26:27]
	v_add_f64 v[144:145], v[24:25], -v[52:53]
	s_mov_b32 s28, 0x2ef20147
	v_add_f64 v[2:3], v[4:5], v[2:3]
	v_fma_f64 v[4:5], s[14:15], v[114:115], v[88:89]
	v_add_f64 v[118:119], v[26:27], v[54:55]
	v_mul_f64 v[92:93], v[144:145], s[26:27]
	s_mov_b32 s22, 0xb2365da1
	s_mov_b32 s29, 0xbfedeba7
	v_add_f64 v[176:177], v[30:31], -v[50:51]
	v_add_f64 v[0:1], v[4:5], v[0:1]
	v_fma_f64 v[4:5], v[118:119], s[14:15], -v[92:93]
	s_mov_b32 s23, 0xbfd6b1d8
	v_add_f64 v[122:123], v[28:29], v[48:49]
	v_mul_f64 v[94:95], v[176:177], s[28:29]
	v_add_f64 v[166:167], v[28:29], -v[48:49]
	s_mov_b32 s34, 0x24c2f84
	v_add_f64 v[2:3], v[4:5], v[2:3]
	v_fma_f64 v[4:5], s[22:23], v[122:123], v[94:95]
	v_add_f64 v[128:129], v[30:31], v[50:51]
	v_mul_f64 v[100:101], v[166:167], s[28:29]
	s_mov_b32 s20, 0xd0032e0c
	s_mov_b32 s35, 0x3fe5384d
	;; [unrolled: 1-line block ×4, first 2 shown]
	v_add_f64 v[200:201], v[34:35], -v[46:47]
	v_add_f64 v[0:1], v[4:5], v[0:1]
	v_fma_f64 v[4:5], v[128:129], s[22:23], -v[100:101]
	s_mov_b32 s21, 0xbfe7f3cc
	v_add_f64 v[140:141], v[32:33], v[44:45]
	v_mul_f64 v[102:103], v[200:201], s[30:31]
	v_add_f64 v[192:193], v[32:33], -v[44:45]
	s_mov_b32 s36, 0x4bc48dbf
	v_add_f64 v[2:3], v[4:5], v[2:3]
	v_fma_f64 v[4:5], s[20:21], v[140:141], v[102:103]
	v_add_f64 v[150:151], v[34:35], v[46:47]
	v_mul_f64 v[106:107], v[192:193], s[30:31]
	s_mov_b32 s24, 0x93053d00
	s_mov_b32 s37, 0xbfcea1e5
	v_add_f64 v[216:217], v[38:39], -v[42:43]
	v_add_f64 v[0:1], v[4:5], v[0:1]
	v_fma_f64 v[4:5], v[150:151], s[20:21], -v[106:107]
	s_mov_b32 s25, 0xbfef11f4
	v_add_f64 v[158:159], v[36:37], v[40:41]
	v_mul_f64 v[110:111], v[216:217], s[36:37]
	v_add_f64 v[206:207], v[36:37], -v[40:41]
	v_add_f64 v[2:3], v[4:5], v[2:3]
	v_fma_f64 v[4:5], s[24:25], v[158:159], v[110:111]
	v_add_f64 v[162:163], v[38:39], v[42:43]
	v_mul_f64 v[116:117], v[206:207], s[36:37]
	v_add_f64 v[0:1], v[4:5], v[0:1]
	v_fma_f64 v[4:5], v[162:163], s[24:25], -v[116:117]
	v_mul_f64 v[124:125], v[76:77], s[16:17]
	v_add_f64 v[2:3], v[4:5], v[2:3]
	v_fma_f64 v[4:5], s[6:7], v[90:91], v[124:125]
	v_mul_f64 v[126:127], v[120:121], s[28:29]
	v_add_f64 v[4:5], v[12:13], v[4:5]
	v_fma_f64 v[6:7], s[22:23], v[104:105], v[126:127]
	v_mul_f64 v[136:137], v[96:97], s[16:17]
	v_add_f64 v[4:5], v[6:7], v[4:5]
	v_fma_f64 v[6:7], v[98:99], s[6:7], -v[136:137]
	v_mul_f64 v[142:143], v[112:113], s[28:29]
	v_add_f64 v[6:7], v[14:15], v[6:7]
	v_fma_f64 v[8:9], v[108:109], s[22:23], -v[142:143]
	v_mul_f64 v[130:131], v[160:161], s[36:37]
	v_add_f64 v[6:7], v[8:9], v[6:7]
	v_fma_f64 v[8:9], s[24:25], v[114:115], v[130:131]
	v_mul_f64 v[148:149], v[144:145], s[36:37]
	v_add_f64 v[4:5], v[8:9], v[4:5]
	v_fma_f64 v[8:9], v[118:119], s[24:25], -v[148:149]
	v_mul_f64 v[138:139], v[176:177], s[34:35]
	v_add_f64 v[6:7], v[8:9], v[6:7]
	v_fma_f64 v[8:9], s[20:21], v[122:123], v[138:139]
	v_mul_f64 v[152:153], v[166:167], s[34:35]
	s_mov_b32 s39, 0x3fefc445
	s_mov_b32 s38, s26
	v_add_f64 v[4:5], v[8:9], v[4:5]
	v_fma_f64 v[8:9], v[128:129], s[20:21], -v[152:153]
	v_mul_f64 v[146:147], v[200:201], s[38:39]
	v_add_f64 v[6:7], v[8:9], v[6:7]
	v_fma_f64 v[8:9], s[14:15], v[140:141], v[146:147]
	v_mul_f64 v[156:157], v[192:193], s[38:39]
	s_mov_b32 s41, 0x3fddbe06
	s_mov_b32 s40, s18
	v_add_f64 v[4:5], v[8:9], v[4:5]
	v_fma_f64 v[8:9], v[150:151], s[14:15], -v[156:157]
	v_mul_f64 v[154:155], v[216:217], s[40:41]
	v_add_f64 v[6:7], v[8:9], v[6:7]
	v_fma_f64 v[8:9], s[4:5], v[158:159], v[154:155]
	v_mul_f64 v[164:165], v[206:207], s[40:41]
	v_add_f64 v[4:5], v[8:9], v[4:5]
	v_fma_f64 v[8:9], v[162:163], s[4:5], -v[164:165]
	v_mul_f64 v[168:169], v[76:77], s[26:27]
	v_add_f64 v[6:7], v[8:9], v[6:7]
	v_fma_f64 v[8:9], s[14:15], v[90:91], v[168:169]
	v_mul_f64 v[170:171], v[120:121], s[36:37]
	v_add_f64 v[8:9], v[12:13], v[8:9]
	v_fma_f64 v[10:11], s[24:25], v[104:105], v[170:171]
	v_mul_f64 v[174:175], v[96:97], s[26:27]
	v_add_f64 v[8:9], v[10:11], v[8:9]
	v_fma_f64 v[10:11], v[98:99], s[14:15], -v[174:175]
	v_mul_f64 v[180:181], v[112:113], s[36:37]
	s_mov_b32 s45, 0x3fedeba7
	s_mov_b32 s44, s28
	v_add_f64 v[10:11], v[14:15], v[10:11]
	v_fma_f64 v[64:65], v[108:109], s[24:25], -v[180:181]
	v_mul_f64 v[172:173], v[160:161], s[44:45]
	v_add_f64 v[10:11], v[64:65], v[10:11]
	v_fma_f64 v[64:65], s[22:23], v[114:115], v[172:173]
	v_mul_f64 v[184:185], v[144:145], s[44:45]
	v_add_f64 v[8:9], v[64:65], v[8:9]
	v_fma_f64 v[64:65], v[118:119], s[22:23], -v[184:185]
	v_mul_f64 v[178:179], v[176:177], s[40:41]
	v_add_f64 v[10:11], v[64:65], v[10:11]
	v_fma_f64 v[64:65], s[4:5], v[122:123], v[178:179]
	v_mul_f64 v[190:191], v[166:167], s[40:41]
	;; [unrolled: 6-line block ×5, first 2 shown]
	v_add_f64 v[64:65], v[12:13], v[64:65]
	v_fma_f64 v[66:67], s[20:21], v[104:105], v[204:205]
	v_mul_f64 v[212:213], v[96:97], s[28:29]
	v_add_f64 v[64:65], v[66:67], v[64:65]
	v_fma_f64 v[66:67], v[98:99], s[22:23], -v[212:213]
	v_mul_f64 v[218:219], v[112:113], s[34:35]
	v_add_f64 v[66:67], v[14:15], v[66:67]
	v_fma_f64 v[68:69], v[108:109], s[20:21], -v[218:219]
	v_mul_f64 v[208:209], v[160:161], s[40:41]
	v_add_f64 v[66:67], v[68:69], v[66:67]
	v_fma_f64 v[68:69], s[4:5], v[114:115], v[208:209]
	v_mul_f64 v[222:223], v[144:145], s[40:41]
	v_add_f64 v[64:65], v[68:69], v[64:65]
	v_fma_f64 v[68:69], v[118:119], s[4:5], -v[222:223]
	v_mul_f64 v[210:211], v[176:177], s[26:27]
	v_add_f64 v[66:67], v[68:69], v[66:67]
	v_fma_f64 v[68:69], s[14:15], v[122:123], v[210:211]
	v_mul_f64 v[224:225], v[166:167], s[26:27]
	s_mov_b32 s43, 0x3fcea1e5
	s_mov_b32 s42, s36
	v_add_f64 v[64:65], v[68:69], v[64:65]
	v_fma_f64 v[68:69], v[128:129], s[14:15], -v[224:225]
	v_mul_f64 v[214:215], v[200:201], s[42:43]
	v_add_f64 v[66:67], v[68:69], v[66:67]
	v_fma_f64 v[68:69], s[24:25], v[140:141], v[214:215]
	v_mul_f64 v[226:227], v[192:193], s[42:43]
	s_mov_b32 s47, 0x3fea55e2
	s_mov_b32 s46, s16
	s_load_dwordx2 s[10:11], s[0:1], 0x8
	v_add_f64 v[64:65], v[68:69], v[64:65]
	v_fma_f64 v[68:69], v[150:151], s[24:25], -v[226:227]
	v_mul_f64 v[220:221], v[216:217], s[46:47]
	v_add_f64 v[66:67], v[68:69], v[66:67]
	v_fma_f64 v[68:69], s[6:7], v[158:159], v[220:221]
	v_mul_f64 v[228:229], v[206:207], s[46:47]
	v_add_f64 v[64:65], v[68:69], v[64:65]
	v_fma_f64 v[68:69], v[162:163], s[6:7], -v[228:229]
	v_add_f64 v[66:67], v[68:69], v[66:67]
	s_waitcnt lgkmcnt(0)
	; wave barrier
	s_waitcnt lgkmcnt(0)
	s_and_saveexec_b64 s[0:1], vcc
	s_cbranch_execz .LBB0_7
; %bb.6:
	v_mul_f64 v[242:243], v[98:99], s[24:25]
	v_mul_f64 v[238:239], v[108:109], s[4:5]
	v_fma_f64 v[244:245], s[42:43], v[96:97], v[242:243]
	v_mul_f64 v[234:235], v[118:119], s[20:21]
	v_fma_f64 v[240:241], s[18:19], v[112:113], v[238:239]
	v_add_f64 v[244:245], v[14:15], v[244:245]
	v_mul_f64 v[78:79], v[128:129], s[6:7]
	v_fma_f64 v[236:237], s[34:35], v[144:145], v[234:235]
	v_add_f64 v[240:241], v[240:241], v[244:245]
	v_mul_f64 v[68:69], v[90:91], s[4:5]
	v_mul_f64 v[74:75], v[150:151], s[22:23]
	v_mov_b64_e32 v[132:133], v[232:233]
	v_fma_f64 v[232:233], s[16:17], v[166:167], v[78:79]
	v_add_f64 v[236:237], v[236:237], v[240:241]
	v_accvgpr_write_b32 a2, v68
	v_mul_f64 v[72:73], v[162:163], s[14:15]
	v_fma_f64 v[70:71], s[44:45], v[192:193], v[74:75]
	v_add_f64 v[232:233], v[232:233], v[236:237]
	v_mul_f64 v[248:249], v[76:77], s[36:37]
	v_fmac_f64_e32 v[242:243], s[36:37], v[96:97]
	v_accvgpr_write_b32 a3, v69
	v_fma_f64 v[68:69], s[26:27], v[206:207], v[72:73]
	v_add_f64 v[70:71], v[70:71], v[232:233]
	v_mul_f64 v[246:247], v[120:121], s[40:41]
	v_fma_f64 v[250:251], s[24:25], v[90:91], v[248:249]
	v_fmac_f64_e32 v[238:239], s[40:41], v[112:113]
	v_add_f64 v[242:243], v[14:15], v[242:243]
	v_add_f64 v[70:71], v[68:69], v[70:71]
	v_mul_f64 v[244:245], v[160:161], s[30:31]
	v_fma_f64 v[68:69], s[4:5], v[104:105], v[246:247]
	v_add_f64 v[250:251], v[12:13], v[250:251]
	v_fmac_f64_e32 v[234:235], s[30:31], v[144:145]
	v_add_f64 v[238:239], v[238:239], v[242:243]
	v_mul_f64 v[240:241], v[176:177], s[46:47]
	v_add_f64 v[68:69], v[68:69], v[250:251]
	v_fma_f64 v[250:251], s[20:21], v[114:115], v[244:245]
	v_fmac_f64_e32 v[78:79], s[46:47], v[166:167]
	v_add_f64 v[234:235], v[234:235], v[238:239]
	v_mul_f64 v[236:237], v[200:201], s[28:29]
	v_add_f64 v[68:69], v[250:251], v[68:69]
	v_fma_f64 v[250:251], s[6:7], v[122:123], v[240:241]
	v_fmac_f64_e32 v[74:75], s[28:29], v[192:193]
	v_add_f64 v[78:79], v[78:79], v[234:235]
	v_add_f64 v[68:69], v[250:251], v[68:69]
	v_fma_f64 v[250:251], s[22:23], v[140:141], v[236:237]
	v_add_f64 v[74:75], v[74:75], v[78:79]
	v_fma_f64 v[78:79], v[140:141], s[22:23], -v[236:237]
	v_fma_f64 v[236:237], v[104:105], s[4:5], -v[246:247]
	;; [unrolled: 1-line block ×3, first 2 shown]
	v_mul_f64 v[246:247], v[98:99], s[20:21]
	v_mul_f64 v[232:233], v[216:217], s[38:39]
	v_fmac_f64_e32 v[72:73], s[38:39], v[206:207]
	v_add_f64 v[238:239], v[12:13], v[238:239]
	v_mul_f64 v[242:243], v[108:109], s[14:15]
	v_fma_f64 v[248:249], s[34:35], v[96:97], v[246:247]
	v_add_f64 v[68:69], v[250:251], v[68:69]
	v_fma_f64 v[250:251], s[14:15], v[158:159], v[232:233]
	v_add_f64 v[74:75], v[72:73], v[74:75]
	v_fma_f64 v[72:73], v[158:159], s[14:15], -v[232:233]
	v_fma_f64 v[232:233], v[122:123], s[6:7], -v[240:241]
	;; [unrolled: 1-line block ×3, first 2 shown]
	v_add_f64 v[236:237], v[236:237], v[238:239]
	v_mul_f64 v[240:241], v[118:119], s[6:7]
	v_fma_f64 v[244:245], s[26:27], v[112:113], v[242:243]
	v_add_f64 v[248:249], v[14:15], v[248:249]
	v_add_f64 v[234:235], v[234:235], v[236:237]
	v_mul_f64 v[238:239], v[128:129], s[24:25]
	v_add_f64 v[244:245], v[244:245], v[248:249]
	v_fma_f64 v[248:249], s[46:47], v[144:145], v[240:241]
	v_add_f64 v[232:233], v[232:233], v[234:235]
	v_mul_f64 v[234:235], v[150:151], s[4:5]
	v_add_f64 v[244:245], v[248:249], v[244:245]
	v_fma_f64 v[248:249], s[36:37], v[166:167], v[238:239]
	v_fma_f64 v[236:237], s[18:19], v[192:193], v[234:235]
	v_add_f64 v[244:245], v[248:249], v[244:245]
	v_add_f64 v[78:79], v[78:79], v[232:233]
	v_mul_f64 v[232:233], v[162:163], s[22:23]
	v_add_f64 v[236:237], v[236:237], v[244:245]
	v_mul_f64 v[244:245], v[76:77], s[30:31]
	v_add_f64 v[72:73], v[72:73], v[78:79]
	v_fma_f64 v[78:79], s[44:45], v[206:207], v[232:233]
	v_mul_f64 v[120:121], v[120:121], s[38:39]
	v_fma_f64 v[76:77], s[20:21], v[90:91], v[244:245]
	v_add_f64 v[78:79], v[78:79], v[236:237]
	v_mul_f64 v[160:161], v[160:161], s[16:17]
	v_fma_f64 v[236:237], s[14:15], v[104:105], v[120:121]
	v_add_f64 v[76:77], v[12:13], v[76:77]
	v_mul_f64 v[176:177], v[176:177], s[42:43]
	v_add_f64 v[76:77], v[236:237], v[76:77]
	v_fma_f64 v[236:237], s[6:7], v[114:115], v[160:161]
	v_mul_f64 v[200:201], v[200:201], s[40:41]
	v_add_f64 v[76:77], v[236:237], v[76:77]
	v_fma_f64 v[236:237], s[24:25], v[122:123], v[176:177]
	;; [unrolled: 3-line block ×3, first 2 shown]
	v_add_f64 v[76:77], v[236:237], v[76:77]
	v_fma_f64 v[236:237], s[22:23], v[158:159], v[216:217]
	v_fmac_f64_e32 v[246:247], s[30:31], v[96:97]
	v_add_f64 v[68:69], v[250:251], v[68:69]
	v_mul_f64 v[250:251], v[90:91], s[6:7]
	v_add_f64 v[76:77], v[236:237], v[76:77]
	v_mul_f64 v[236:237], v[90:91], s[14:15]
	v_fmac_f64_e32 v[232:233], s[28:29], v[206:207]
	v_mul_f64 v[206:207], v[90:91], s[22:23]
	v_fmac_f64_e32 v[242:243], s[38:39], v[112:113]
	v_add_f64 v[96:97], v[14:15], v[246:247]
	v_fma_f64 v[90:91], v[90:91], s[20:21], -v[244:245]
	v_mul_f64 v[196:197], v[98:99], s[4:5]
	v_mul_f64 v[252:253], v[98:99], s[6:7]
	;; [unrolled: 1-line block ×4, first 2 shown]
	v_fmac_f64_e32 v[240:241], s[16:17], v[144:145]
	v_add_f64 v[96:97], v[242:243], v[96:97]
	v_fma_f64 v[98:99], v[104:105], s[14:15], -v[120:121]
	v_add_f64 v[90:91], v[12:13], v[90:91]
	v_fmac_f64_e32 v[238:239], s[42:43], v[166:167]
	v_add_f64 v[96:97], v[240:241], v[96:97]
	v_add_f64 v[90:91], v[98:99], v[90:91]
	v_fma_f64 v[98:99], v[114:115], s[6:7], -v[160:161]
	v_fmac_f64_e32 v[234:235], s[40:41], v[192:193]
	v_add_f64 v[96:97], v[238:239], v[96:97]
	v_add_f64 v[90:91], v[98:99], v[90:91]
	v_fma_f64 v[98:99], v[122:123], s[24:25], -v[176:177]
	v_mul_f64 v[166:167], v[108:109], s[6:7]
	v_accvgpr_write_b32 a0, v230
	v_accvgpr_write_b32 a1, v231
	v_mul_f64 v[230:231], v[108:109], s[22:23]
	v_mul_f64 v[242:243], v[108:109], s[24:25]
	;; [unrolled: 1-line block ×3, first 2 shown]
	v_add_f64 v[96:97], v[234:235], v[96:97]
	v_add_f64 v[90:91], v[98:99], v[90:91]
	v_fma_f64 v[98:99], v[140:141], s[4:5], -v[200:201]
	v_add_f64 v[212:213], v[212:213], v[254:255]
	v_mul_f64 v[234:235], v[118:119], s[14:15]
	v_mul_f64 v[240:241], v[118:119], s[24:25]
	;; [unrolled: 1-line block ×4, first 2 shown]
	v_add_f64 v[90:91], v[98:99], v[90:91]
	v_add_f64 v[98:99], v[232:233], v[96:97]
	v_fma_f64 v[96:97], v[158:159], s[22:23], -v[216:217]
	v_mul_f64 v[216:217], v[150:151], s[24:25]
	v_add_f64 v[108:109], v[218:219], v[108:109]
	v_add_f64 v[212:213], v[14:15], v[212:213]
	;; [unrolled: 1-line block ×3, first 2 shown]
	v_mul_f64 v[226:227], v[128:129], s[14:15]
	v_add_f64 v[118:119], v[222:223], v[118:119]
	v_add_f64 v[108:109], v[108:109], v[212:213]
	;; [unrolled: 1-line block ×4, first 2 shown]
	v_mul_f64 v[200:201], v[162:163], s[6:7]
	v_add_f64 v[108:109], v[224:225], v[108:109]
	v_mul_f64 v[192:193], v[104:105], s[6:7]
	v_mul_f64 v[144:145], v[104:105], s[22:23]
	;; [unrolled: 1-line block ×8, first 2 shown]
	v_add_f64 v[200:201], v[228:229], v[200:201]
	v_add_f64 v[108:109], v[216:217], v[108:109]
	v_add_f64 v[208:209], v[114:115], -v[208:209]
	v_add_f64 v[114:115], v[200:201], v[108:109]
	v_add_f64 v[108:109], v[112:113], -v[204:205]
	v_add_f64 v[112:113], v[206:207], -v[202:203]
	v_add_f64 v[112:113], v[12:13], v[112:113]
	v_mul_f64 v[160:161], v[122:123], s[22:23]
	v_add_f64 v[96:97], v[96:97], v[90:91]
	v_mul_f64 v[90:91], v[122:123], s[20:21]
	v_mul_f64 v[222:223], v[122:123], s[4:5]
	;; [unrolled: 1-line block ×3, first 2 shown]
	v_add_f64 v[108:109], v[108:109], v[112:113]
	v_mul_f64 v[218:219], v[140:141], s[20:21]
	v_mul_f64 v[228:229], v[150:151], s[20:21]
	;; [unrolled: 1-line block ×7, first 2 shown]
	v_add_f64 v[122:123], v[122:123], -v[210:211]
	v_add_f64 v[108:109], v[208:209], v[108:109]
	v_add_f64 v[140:141], v[140:141], -v[214:215]
	v_add_f64 v[108:109], v[122:123], v[108:109]
	v_add_f64 v[122:123], v[194:195], v[150:151]
	;; [unrolled: 1-line block ×11, first 2 shown]
	v_mul_f64 v[176:177], v[128:129], s[22:23]
	v_mul_f64 v[226:227], v[128:129], s[20:21]
	;; [unrolled: 1-line block ×3, first 2 shown]
	v_add_f64 v[120:121], v[120:121], v[140:141]
	v_add_f64 v[140:141], v[236:237], -v[168:169]
	v_add_f64 v[92:93], v[92:93], v[234:235]
	v_add_f64 v[82:83], v[86:87], v[82:83]
	;; [unrolled: 1-line block ×3, first 2 shown]
	v_add_f64 v[80:81], v[80:81], -v[170:171]
	v_add_f64 v[140:141], v[12:13], v[140:141]
	v_add_f64 v[82:83], v[92:93], v[82:83]
	v_accvgpr_read_b32 v93, a3
	v_mul_f64 v[216:217], v[158:159], s[6:7]
	v_add_f64 v[120:121], v[128:129], v[120:121]
	v_add_f64 v[128:129], v[244:245], -v[172:173]
	v_add_f64 v[80:81], v[80:81], v[140:141]
	v_add_f64 v[136:137], v[136:137], v[252:253]
	v_accvgpr_read_b32 v92, a2
	v_add_f64 v[216:217], v[216:217], -v[220:221]
	v_mul_f64 v[214:215], v[162:163], s[24:25]
	v_mul_f64 v[224:225], v[162:163], s[4:5]
	;; [unrolled: 1-line block ×3, first 2 shown]
	v_add_f64 v[120:121], v[122:123], v[120:121]
	v_add_f64 v[122:123], v[222:223], -v[178:179]
	v_add_f64 v[80:81], v[128:129], v[80:81]
	v_add_f64 v[140:141], v[142:143], v[230:231]
	;; [unrolled: 1-line block ×3, first 2 shown]
	v_add_f64 v[124:125], v[250:251], -v[124:125]
	v_add_f64 v[92:93], v[92:93], -v[186:187]
	v_mul_f64 v[220:221], v[158:159], s[24:25]
	v_mul_f64 v[210:211], v[158:159], s[4:5]
	;; [unrolled: 1-line block ×3, first 2 shown]
	v_add_f64 v[112:113], v[216:217], v[108:109]
	v_add_f64 v[108:109], v[198:199], v[162:163]
	v_add_f64 v[118:119], v[118:119], -v[182:183]
	v_add_f64 v[80:81], v[122:123], v[80:81]
	v_add_f64 v[128:129], v[148:149], v[240:241]
	;; [unrolled: 1-line block ×8, first 2 shown]
	v_add_f64 v[108:109], v[158:159], -v[188:189]
	v_add_f64 v[80:81], v[118:119], v[80:81]
	v_add_f64 v[122:123], v[152:153], v[226:227]
	;; [unrolled: 1-line block ×11, first 2 shown]
	v_add_f64 v[122:123], v[144:145], -v[126:127]
	v_add_f64 v[14:15], v[14:15], v[30:31]
	v_add_f64 v[12:13], v[12:13], v[28:29]
	v_add_f64 v[104:105], v[104:105], -v[130:131]
	v_add_f64 v[122:123], v[122:123], v[124:125]
	v_add_f64 v[14:15], v[14:15], v[34:35]
	v_add_f64 v[12:13], v[12:13], v[32:33]
	v_add_f64 v[80:81], v[164:165], v[224:225]
	v_add_f64 v[90:91], v[90:91], -v[138:139]
	v_add_f64 v[104:105], v[104:105], v[122:123]
	v_add_f64 v[14:15], v[14:15], v[38:39]
	;; [unrolled: 5-line block ×3, first 2 shown]
	v_add_f64 v[12:13], v[12:13], v[40:41]
	v_add_f64 v[80:81], v[210:211], -v[154:155]
	v_add_f64 v[90:91], v[108:109], v[90:91]
	v_add_f64 v[100:101], v[100:101], v[176:177]
	v_add_f64 v[84:85], v[192:193], -v[84:85]
	v_add_f64 v[14:15], v[14:15], v[46:47]
	v_add_f64 v[12:13], v[12:13], v[44:45]
	;; [unrolled: 1-line block ×5, first 2 shown]
	v_add_f64 v[88:89], v[238:239], -v[88:89]
	v_add_f64 v[84:85], v[84:85], v[92:93]
	v_add_f64 v[14:15], v[14:15], v[50:51]
	;; [unrolled: 1-line block ×3, first 2 shown]
	v_mov_b64_e32 v[232:233], v[132:133]
	v_add_f64 v[82:83], v[90:91], v[82:83]
	v_add_f64 v[90:91], v[160:161], -v[94:95]
	v_add_f64 v[84:85], v[88:89], v[84:85]
	v_add_f64 v[14:15], v[14:15], v[54:55]
	;; [unrolled: 1-line block ×3, first 2 shown]
	v_accvgpr_read_b32 v230, a0
	v_add_f64 v[80:81], v[116:117], v[214:215]
	v_add_f64 v[86:87], v[218:219], -v[102:103]
	v_add_f64 v[84:85], v[90:91], v[84:85]
	v_add_f64 v[14:15], v[14:15], v[58:59]
	;; [unrolled: 1-line block ×3, first 2 shown]
	v_mul_lo_u16_e32 v16, 13, v232
	v_accvgpr_read_b32 v231, a1
	v_add_f64 v[82:83], v[80:81], v[82:83]
	v_add_f64 v[80:81], v[220:221], -v[110:111]
	v_add_f64 v[84:85], v[86:87], v[84:85]
	v_add_f64 v[14:15], v[14:15], v[62:63]
	;; [unrolled: 1-line block ×3, first 2 shown]
	v_add_lshl_u32 v16, v230, v16, 4
	v_add_f64 v[80:81], v[80:81], v[84:85]
	ds_write_b128 v16, v[12:15]
	ds_write_b128 v16, v[80:83] offset:16
	ds_write_b128 v16, v[126:129] offset:32
	;; [unrolled: 1-line block ×12, first 2 shown]
.LBB0_7:
	s_or_b64 exec, exec, s[0:1]
	v_lshl_add_u64 v[44:45], v[232:233], 0, -13
	v_cmp_gt_u16_e64 s[0:1], 13, v232
	s_load_dwordx4 s[4:7], s[2:3], 0x0
	s_waitcnt lgkmcnt(0)
	v_cndmask_b32_e64 v47, v45, 0, s[0:1]
	v_cndmask_b32_e64 v46, v44, v232, s[0:1]
	v_lshlrev_b64 v[12:13], 7, v[46:47]
	v_lshl_add_u64 v[48:49], s[10:11], 0, v[12:13]
	; wave barrier
	global_load_dwordx4 v[24:27], v[48:49], off
	global_load_dwordx4 v[20:23], v[48:49], off offset:16
	global_load_dwordx4 v[16:19], v[48:49], off offset:32
	;; [unrolled: 1-line block ×7, first 2 shown]
	v_add_lshl_u32 v200, v230, v232, 4
	ds_read_b128 v[48:51], v200
	ds_read_b128 v[52:55], v200 offset:416
	ds_read_b128 v[56:59], v200 offset:832
	;; [unrolled: 1-line block ×8, first 2 shown]
	s_mov_b32 s18, 0xa2cf5039
	s_mov_b32 s3, 0x3fe491b7
	;; [unrolled: 1-line block ×16, first 2 shown]
	v_mov_b32_e32 v47, 0x75
	s_waitcnt lgkmcnt(0)
	; wave barrier
	s_waitcnt vmcnt(7) lgkmcnt(0)
	v_mul_f64 v[88:89], v[54:55], v[26:27]
	v_mul_f64 v[90:91], v[52:53], v[26:27]
	s_waitcnt vmcnt(5)
	v_mul_f64 v[98:99], v[60:61], v[18:19]
	v_mul_f64 v[92:93], v[58:59], v[22:23]
	;; [unrolled: 1-line block ×4, first 2 shown]
	s_waitcnt vmcnt(2)
	v_mul_f64 v[108:109], v[78:79], v[38:39]
	s_waitcnt vmcnt(0)
	v_mul_f64 v[116:117], v[86:87], v[30:31]
	v_mul_f64 v[118:119], v[84:85], v[30:31]
	;; [unrolled: 1-line block ×4, first 2 shown]
	v_fma_f64 v[52:53], v[52:53], v[24:25], -v[88:89]
	v_fmac_f64_e32 v[90:91], v[54:55], v[24:25]
	v_fmac_f64_e32 v[98:99], v[62:63], v[16:17]
	v_fma_f64 v[62:63], v[84:85], v[28:29], -v[116:117]
	v_fmac_f64_e32 v[118:119], v[86:87], v[28:29]
	v_mul_f64 v[100:101], v[70:71], v[14:15]
	v_mul_f64 v[110:111], v[76:77], v[38:39]
	v_fma_f64 v[54:55], v[56:57], v[20:21], -v[92:93]
	v_fmac_f64_e32 v[94:95], v[58:59], v[20:21]
	v_fma_f64 v[56:57], v[60:61], v[16:17], -v[96:97]
	v_fma_f64 v[58:59], v[76:77], v[36:37], -v[108:109]
	v_fma_f64 v[60:61], v[80:81], v[32:33], -v[112:113]
	v_fmac_f64_e32 v[114:115], v[82:83], v[32:33]
	v_add_f64 v[82:83], v[90:91], v[118:119]
	v_add_f64 v[76:77], v[52:53], -v[62:63]
	v_mul_f64 v[102:103], v[68:69], v[14:15]
	v_mul_f64 v[104:105], v[74:75], v[42:43]
	;; [unrolled: 1-line block ×3, first 2 shown]
	v_fma_f64 v[88:89], v[68:69], v[12:13], -v[100:101]
	v_fmac_f64_e32 v[110:111], v[78:79], v[36:37]
	v_add_f64 v[80:81], v[52:53], v[62:63]
	v_add_f64 v[84:85], v[54:55], v[60:61]
	;; [unrolled: 1-line block ×4, first 2 shown]
	v_add_f64 v[78:79], v[90:91], -v[118:119]
	v_add_f64 v[90:91], v[54:55], -v[60:61]
	;; [unrolled: 1-line block ×3, first 2 shown]
	v_mul_f64 v[56:57], v[76:77], s[2:3]
	v_fma_f64 v[54:55], s[18:19], v[82:83], v[50:51]
	v_fmac_f64_e32 v[102:103], v[70:71], v[12:13]
	v_fma_f64 v[92:93], v[72:73], v[40:41], -v[104:105]
	v_fmac_f64_e32 v[106:107], v[74:75], v[40:41]
	v_add_f64 v[104:105], v[98:99], v[110:111]
	v_add_f64 v[94:95], v[94:95], -v[114:115]
	v_mul_f64 v[58:59], v[78:79], s[2:3]
	v_fmac_f64_e32 v[56:57], s[14:15], v[90:91]
	v_fma_f64 v[52:53], s[18:19], v[80:81], v[48:49]
	v_fmac_f64_e32 v[54:55], s[22:23], v[86:87]
	v_add_f64 v[110:111], v[98:99], -v[110:111]
	v_add_f64 v[112:113], v[88:89], -v[92:93]
	v_fmac_f64_e32 v[58:59], s[14:15], v[94:95]
	v_fmac_f64_e32 v[56:57], s[16:17], v[108:109]
	;; [unrolled: 1-line block ×3, first 2 shown]
	v_fmac_f64_e32 v[54:55], -0.5, v[104:105]
	v_add_f64 v[118:119], v[102:103], v[106:107]
	v_add_f64 v[114:115], v[102:103], -v[106:107]
	v_fmac_f64_e32 v[58:59], s[16:17], v[110:111]
	v_fmac_f64_e32 v[56:57], s[20:21], v[112:113]
	v_fmac_f64_e32 v[52:53], -0.5, v[100:101]
	v_add_f64 v[116:117], v[88:89], v[92:93]
	v_fmac_f64_e32 v[54:55], s[24:25], v[118:119]
	v_fmac_f64_e32 v[58:59], s[20:21], v[114:115]
	;; [unrolled: 1-line block ×3, first 2 shown]
	v_add_f64 v[54:55], v[54:55], -v[56:57]
	v_add_f64 v[52:53], v[58:59], v[52:53]
	v_mov_b64_e32 v[98:99], v[54:55]
	s_mov_b32 s3, 0xbfe491b7
	v_mov_b64_e32 v[96:97], v[52:53]
	v_fmac_f64_e32 v[98:99], 2.0, v[56:57]
	v_mul_f64 v[62:63], v[114:115], s[2:3]
	v_fma_f64 v[56:57], s[18:19], v[116:117], v[48:49]
	v_fmac_f64_e32 v[96:97], -2.0, v[58:59]
	v_mul_f64 v[68:69], v[112:113], s[2:3]
	v_fmac_f64_e32 v[62:63], s[14:15], v[78:79]
	v_fma_f64 v[58:59], s[18:19], v[118:119], v[50:51]
	v_fmac_f64_e32 v[56:57], s[22:23], v[80:81]
	v_fmac_f64_e32 v[68:69], s[14:15], v[76:77]
	;; [unrolled: 1-line block ×4, first 2 shown]
	v_fmac_f64_e32 v[56:57], -0.5, v[100:101]
	v_fmac_f64_e32 v[68:69], s[26:27], v[108:109]
	v_fmac_f64_e32 v[62:63], s[20:21], v[94:95]
	v_fmac_f64_e32 v[58:59], -0.5, v[104:105]
	v_fmac_f64_e32 v[56:57], s[24:25], v[84:85]
	v_fmac_f64_e32 v[68:69], s[20:21], v[90:91]
	v_fmac_f64_e32 v[58:59], s[24:25], v[86:87]
	v_add_f64 v[56:57], v[62:63], v[56:57]
	v_add_f64 v[58:59], v[58:59], -v[68:69]
	v_mov_b64_e32 v[60:61], v[56:57]
	v_fmac_f64_e32 v[60:61], -2.0, v[62:63]
	v_mov_b64_e32 v[62:63], v[58:59]
	v_fmac_f64_e32 v[62:63], 2.0, v[68:69]
	v_add_f64 v[68:69], v[112:113], v[76:77]
	v_add_f64 v[70:71], v[114:115], v[78:79]
	v_mul_f64 v[112:113], v[112:113], s[14:15]
	v_mul_f64 v[114:115], v[114:115], s[14:15]
	v_add_f64 v[72:73], v[68:69], -v[90:91]
	v_add_f64 v[74:75], v[70:71], -v[94:95]
	v_fma_f64 v[90:91], v[90:91], s[2:3], -v[112:113]
	v_fma_f64 v[94:95], v[94:95], s[2:3], -v[114:115]
	v_add_f64 v[124:125], v[84:85], v[80:81]
	v_add_f64 v[126:127], v[86:87], v[82:83]
	v_fmac_f64_e32 v[90:91], s[16:17], v[108:109]
	v_fmac_f64_e32 v[94:95], s[16:17], v[110:111]
	;; [unrolled: 1-line block ×4, first 2 shown]
	v_add_f64 v[76:77], v[100:101], v[124:125]
	v_add_f64 v[78:79], v[104:105], v[126:127]
	;; [unrolled: 1-line block ×10, first 2 shown]
	v_fmac_f64_e32 v[48:49], s[18:19], v[84:85]
	v_fmac_f64_e32 v[50:51], s[18:19], v[86:87]
	;; [unrolled: 1-line block ×4, first 2 shown]
	v_add_f64 v[128:129], v[116:117], v[124:125]
	v_add_f64 v[130:131], v[118:119], v[126:127]
	v_fmac_f64_e32 v[48:49], -0.5, v[100:101]
	v_fmac_f64_e32 v[50:51], -0.5, v[104:105]
	;; [unrolled: 1-line block ×4, first 2 shown]
	v_fmac_f64_e32 v[48:49], s[24:25], v[80:81]
	v_fmac_f64_e32 v[50:51], s[24:25], v[82:83]
	v_cmp_lt_u16_e64 s[2:3], 12, v232
	v_fmac_f64_e32 v[68:69], s[16:17], v[74:75]
	v_fmac_f64_e32 v[70:71], s[26:27], v[72:73]
	v_add_f64 v[48:49], v[94:95], v[48:49]
	v_add_f64 v[50:51], v[50:51], -v[90:91]
	v_cndmask_b32_e64 v47, 0, v47, s[2:3]
	v_mul_f64 v[120:121], v[72:73], s[16:17]
	v_mul_f64 v[122:123], v[74:75], s[16:17]
	v_mov_b64_e32 v[72:73], v[68:69]
	v_mov_b64_e32 v[74:75], v[70:71]
	;; [unrolled: 1-line block ×4, first 2 shown]
	v_add_u32_e32 v46, v46, v47
	v_fmac_f64_e32 v[72:73], -2.0, v[122:123]
	v_fmac_f64_e32 v[74:75], 2.0, v[120:121]
	v_fmac_f64_e32 v[80:81], -2.0, v[94:95]
	v_fmac_f64_e32 v[82:83], 2.0, v[90:91]
	v_add_lshl_u32 v201, v230, v46, 4
	ds_write_b128 v201, v[76:79]
	ds_write_b128 v201, v[52:55] offset:208
	ds_write_b128 v201, v[56:59] offset:416
	;; [unrolled: 1-line block ×8, first 2 shown]
	s_waitcnt lgkmcnt(0)
	; wave barrier
	s_waitcnt lgkmcnt(0)
	ds_read_b128 v[72:75], v200
	ds_read_b128 v[80:83], v200 offset:416
	ds_read_b128 v[76:79], v200 offset:1872
	;; [unrolled: 1-line block ×7, first 2 shown]
	s_and_saveexec_b64 s[2:3], s[0:1]
	s_cbranch_execz .LBB0_9
; %bb.8:
	ds_read_b128 v[96:99], v200 offset:1664
	ds_read_b128 v[64:67], v200 offset:3536
	s_mov_b64 s[14:15], 0x68
	v_lshl_add_u64 v[44:45], v[232:233], 0, s[14:15]
.LBB0_9:
	s_or_b64 exec, exec, s[2:3]
	global_load_dwordx4 v[48:51], v135, s[10:11] offset:1664
	global_load_dwordx4 v[52:55], v135, s[10:11] offset:2080
	;; [unrolled: 1-line block ×4, first 2 shown]
	v_lshl_add_u64 v[44:45], v[44:45], 4, s[10:11]
	global_load_dwordx4 v[44:47], v[44:45], off offset:1664
	v_lshl_add_u32 v133, v232, 4, v231
	v_add_u32_e32 v132, v135, v231
	s_waitcnt vmcnt(4) lgkmcnt(5)
	v_mul_f64 v[104:105], v[78:79], v[50:51]
	v_mul_f64 v[106:107], v[76:77], v[50:51]
	s_waitcnt vmcnt(3) lgkmcnt(4)
	v_mul_f64 v[108:109], v[70:71], v[54:55]
	v_mul_f64 v[110:111], v[68:69], v[54:55]
	;; [unrolled: 3-line block ×4, first 2 shown]
	v_fma_f64 v[76:77], v[76:77], v[48:49], -v[104:105]
	v_fmac_f64_e32 v[106:107], v[78:79], v[48:49]
	v_fma_f64 v[78:79], v[68:69], v[52:53], -v[108:109]
	v_fmac_f64_e32 v[110:111], v[70:71], v[52:53]
	v_fma_f64 v[92:93], v[92:93], v[56:57], -v[112:113]
	v_fmac_f64_e32 v[114:115], v[94:95], v[56:57]
	v_fma_f64 v[94:95], v[84:85], v[60:61], -v[116:117]
	v_fmac_f64_e32 v[118:119], v[86:87], v[60:61]
	s_waitcnt vmcnt(0)
	v_mul_f64 v[68:69], v[66:67], v[46:47]
	v_mul_f64 v[104:105], v[64:65], v[46:47]
	v_fma_f64 v[108:109], v[64:65], v[44:45], -v[68:69]
	v_fmac_f64_e32 v[104:105], v[66:67], v[44:45]
	v_add_f64 v[68:69], v[72:73], -v[76:77]
	v_add_f64 v[70:71], v[74:75], -v[106:107]
	;; [unrolled: 1-line block ×8, first 2 shown]
	v_fma_f64 v[64:65], v[72:73], 2.0, -v[68:69]
	v_fma_f64 v[66:67], v[74:75], 2.0, -v[70:71]
	;; [unrolled: 1-line block ×8, first 2 shown]
	v_add_f64 v[100:101], v[96:97], -v[108:109]
	v_add_f64 v[102:103], v[98:99], -v[104:105]
	v_fma_f64 v[96:97], v[96:97], 2.0, -v[100:101]
	v_fma_f64 v[98:99], v[98:99], 2.0, -v[102:103]
	ds_write_b128 v133, v[68:71] offset:1872
	ds_write_b128 v133, v[76:79] offset:2288
	ds_write_b128 v133, v[64:67]
	ds_write_b128 v133, v[72:75] offset:416
	ds_write_b128 v133, v[80:83] offset:832
	ds_write_b128 v132, v[84:87] offset:2704
	ds_write_b128 v133, v[88:91] offset:1248
	ds_write_b128 v132, v[92:95] offset:3120
	s_and_saveexec_b64 s[2:3], s[0:1]
	s_cbranch_execz .LBB0_11
; %bb.10:
	ds_write_b128 v133, v[96:99] offset:1664
	ds_write_b128 v133, v[100:103] offset:3536
.LBB0_11:
	s_or_b64 exec, exec, s[2:3]
	s_waitcnt lgkmcnt(0)
	; wave barrier
	s_waitcnt lgkmcnt(0)
	s_and_saveexec_b64 s[2:3], vcc
	s_cbranch_execz .LBB0_13
; %bb.12:
	global_load_dwordx4 v[104:107], v135, s[8:9] offset:3744
	s_add_u32 s10, s8, 0xea0
	s_addc_u32 s11, s9, 0
	global_load_dwordx4 v[108:111], v135, s[10:11] offset:288
	global_load_dwordx4 v[112:115], v135, s[10:11] offset:576
	;; [unrolled: 1-line block ×12, first 2 shown]
	ds_read_b128 v[160:163], v133
	ds_read_b128 v[164:167], v133 offset:288
	ds_read_b128 v[168:171], v133 offset:576
	;; [unrolled: 1-line block ×12, first 2 shown]
	s_waitcnt vmcnt(6) lgkmcnt(6)
	v_mul_f64 v[220:221], v[186:187], v[130:131]
	s_waitcnt vmcnt(5) lgkmcnt(5)
	v_mul_f64 v[222:223], v[190:191], v[138:139]
	;; [unrolled: 2-line block ×3, first 2 shown]
	v_mul_f64 v[216:217], v[162:163], v[106:107]
	v_mul_f64 v[218:219], v[160:161], v[106:107]
	v_fma_f64 v[216:217], v[160:161], v[104:105], -v[216:217]
	v_fmac_f64_e32 v[218:219], v[162:163], v[104:105]
	v_mul_f64 v[104:105], v[166:167], v[110:111]
	v_mul_f64 v[106:107], v[164:165], v[110:111]
	ds_write_b128 v133, v[216:219]
	v_mul_f64 v[160:161], v[170:171], v[114:115]
	v_mul_f64 v[110:111], v[168:169], v[114:115]
	v_mul_f64 v[162:163], v[174:175], v[118:119]
	v_mul_f64 v[114:115], v[172:173], v[118:119]
	v_mul_f64 v[216:217], v[178:179], v[122:123]
	v_mul_f64 v[118:119], v[176:177], v[122:123]
	v_mul_f64 v[218:219], v[182:183], v[126:127]
	v_mul_f64 v[122:123], v[180:181], v[126:127]
	v_mul_f64 v[126:127], v[184:185], v[130:131]
	v_mul_f64 v[130:131], v[188:189], v[138:139]
	v_mul_f64 v[138:139], v[192:193], v[142:143]
	s_waitcnt vmcnt(3) lgkmcnt(4)
	v_mul_f64 v[226:227], v[198:199], v[146:147]
	v_mul_f64 v[142:143], v[196:197], v[146:147]
	s_waitcnt vmcnt(2) lgkmcnt(3)
	v_mul_f64 v[228:229], v[206:207], v[150:151]
	v_mul_f64 v[146:147], v[204:205], v[150:151]
	s_waitcnt vmcnt(1) lgkmcnt(2)
	v_mul_f64 v[150:151], v[210:211], v[154:155]
	v_fma_f64 v[104:105], v[164:165], v[108:109], -v[104:105]
	v_fmac_f64_e32 v[106:107], v[166:167], v[108:109]
	v_fma_f64 v[108:109], v[168:169], v[112:113], -v[160:161]
	v_fmac_f64_e32 v[110:111], v[170:171], v[112:113]
	;; [unrolled: 2-line block ×10, first 2 shown]
	v_fma_f64 v[148:149], v[208:209], v[152:153], -v[150:151]
	ds_write_b128 v133, v[104:107] offset:288
	ds_write_b128 v133, v[108:111] offset:576
	;; [unrolled: 1-line block ×10, first 2 shown]
	v_mul_f64 v[150:151], v[208:209], v[154:155]
	s_waitcnt vmcnt(0) lgkmcnt(11)
	v_mul_f64 v[104:105], v[214:215], v[158:159]
	v_mul_f64 v[106:107], v[212:213], v[158:159]
	v_fmac_f64_e32 v[150:151], v[210:211], v[152:153]
	v_fma_f64 v[104:105], v[212:213], v[156:157], -v[104:105]
	v_fmac_f64_e32 v[106:107], v[214:215], v[156:157]
	ds_write_b128 v133, v[148:151] offset:3168
	ds_write_b128 v133, v[104:107] offset:3456
.LBB0_13:
	s_or_b64 exec, exec, s[2:3]
	s_waitcnt lgkmcnt(0)
	; wave barrier
	s_waitcnt lgkmcnt(0)
	s_and_saveexec_b64 s[2:3], vcc
	s_cbranch_execz .LBB0_15
; %bb.14:
	ds_read_b128 v[64:67], v133
	ds_read_b128 v[68:71], v133 offset:288
	ds_read_b128 v[72:75], v133 offset:576
	;; [unrolled: 1-line block ×12, first 2 shown]
.LBB0_15:
	s_or_b64 exec, exec, s[2:3]
	s_mov_b32 s18, 0x2ef20147
	s_waitcnt lgkmcnt(0)
	v_add_f64 v[142:143], v[70:71], -v[2:3]
	s_mov_b32 s2, 0xb2365da1
	s_mov_b32 s19, 0xbfedeba7
	;; [unrolled: 1-line block ×3, first 2 shown]
	v_add_f64 v[136:137], v[68:69], v[0:1]
	v_add_f64 v[138:139], v[70:71], v[2:3]
	s_mov_b32 s3, 0xbfd6b1d8
	v_mul_f64 v[124:125], v[142:143], s[18:19]
	v_add_f64 v[150:151], v[74:75], -v[6:7]
	s_mov_b32 s14, 0xd0032e0c
	s_mov_b32 s31, 0x3fe5384d
	v_add_f64 v[148:149], v[68:69], -v[0:1]
	v_mul_f64 v[126:127], v[138:139], s[2:3]
	v_fma_f64 v[104:105], v[136:137], s[2:3], -v[124:125]
	v_add_f64 v[140:141], v[72:73], v[4:5]
	v_add_f64 v[144:145], v[74:75], v[6:7]
	s_mov_b32 s15, 0xbfe7f3cc
	v_mul_f64 v[128:129], v[150:151], s[30:31]
	v_add_f64 v[104:105], v[64:65], v[104:105]
	v_fma_f64 v[106:107], s[18:19], v[148:149], v[126:127]
	v_add_f64 v[156:157], v[72:73], -v[4:5]
	v_mul_f64 v[130:131], v[144:145], s[14:15]
	v_fma_f64 v[108:109], v[140:141], s[14:15], -v[128:129]
	v_add_f64 v[158:159], v[78:79], -v[10:11]
	s_mov_b32 s16, 0xe00740e9
	s_mov_b32 s23, 0x3fddbe06
	;; [unrolled: 1-line block ×3, first 2 shown]
	v_add_f64 v[106:107], v[66:67], v[106:107]
	v_add_f64 v[104:105], v[108:109], v[104:105]
	v_fma_f64 v[108:109], s[30:31], v[156:157], v[130:131]
	v_add_f64 v[146:147], v[76:77], v[8:9]
	v_add_f64 v[152:153], v[78:79], v[10:11]
	s_mov_b32 s17, 0x3fec55a7
	v_mul_f64 v[184:185], v[158:159], s[22:23]
	s_mov_b32 s26, 0x66966769
	v_add_f64 v[106:107], v[108:109], v[106:107]
	v_add_f64 v[166:167], v[76:77], -v[8:9]
	v_mul_f64 v[186:187], v[152:153], s[16:17]
	v_fma_f64 v[108:109], v[146:147], s[16:17], -v[184:185]
	v_add_f64 v[164:165], v[82:83], -v[102:103]
	s_mov_b32 s20, 0xebaa3ed8
	s_mov_b32 s27, 0xbfefc445
	v_add_f64 v[104:105], v[108:109], v[104:105]
	v_fma_f64 v[108:109], s[22:23], v[166:167], v[186:187]
	v_add_f64 v[154:155], v[80:81], v[100:101]
	v_add_f64 v[160:161], v[82:83], v[102:103]
	s_mov_b32 s21, 0x3fbedb7d
	v_mul_f64 v[188:189], v[164:165], s[26:27]
	s_mov_b32 s42, 0x4bc48dbf
	v_add_f64 v[106:107], v[108:109], v[106:107]
	v_add_f64 v[172:173], v[80:81], -v[100:101]
	v_mul_f64 v[190:191], v[160:161], s[20:21]
	v_fma_f64 v[108:109], v[154:155], s[20:21], -v[188:189]
	v_add_f64 v[174:175], v[86:87], -v[98:99]
	s_mov_b32 s24, 0x93053d00
	s_mov_b32 s43, 0x3fcea1e5
	v_add_f64 v[104:105], v[108:109], v[104:105]
	v_fma_f64 v[108:109], s[26:27], v[172:173], v[190:191]
	v_add_f64 v[162:163], v[84:85], v[96:97]
	v_add_f64 v[168:169], v[86:87], v[98:99]
	s_mov_b32 s25, 0xbfef11f4
	v_mul_f64 v[192:193], v[174:175], s[42:43]
	v_add_f64 v[106:107], v[108:109], v[106:107]
	v_add_f64 v[178:179], v[84:85], -v[96:97]
	v_mul_f64 v[194:195], v[168:169], s[24:25]
	v_fma_f64 v[108:109], v[162:163], s[24:25], -v[192:193]
	v_add_f64 v[180:181], v[90:91], -v[94:95]
	s_mov_b32 s28, 0x1ea71119
	s_mov_b32 s35, 0x3fea55e2
	;; [unrolled: 1-line block ×3, first 2 shown]
	v_add_f64 v[104:105], v[108:109], v[104:105]
	v_fma_f64 v[108:109], s[42:43], v[178:179], v[194:195]
	v_add_f64 v[170:171], v[88:89], v[92:93]
	v_add_f64 v[176:177], v[90:91], v[94:95]
	s_mov_b32 s29, 0x3fe22d96
	v_mul_f64 v[196:197], v[180:181], s[34:35]
	v_add_f64 v[106:107], v[108:109], v[106:107]
	v_add_f64 v[182:183], v[88:89], -v[92:93]
	v_mul_f64 v[198:199], v[176:177], s[28:29]
	v_fma_f64 v[108:109], v[170:171], s[28:29], -v[196:197]
	v_add_f64 v[104:105], v[108:109], v[104:105]
	v_fma_f64 v[108:109], s[34:35], v[182:183], v[198:199]
	v_add_f64 v[106:107], v[108:109], v[106:107]
	s_waitcnt lgkmcnt(0)
	; wave barrier
	s_and_saveexec_b64 s[10:11], vcc
	s_cbranch_execz .LBB0_17
; %bb.16:
	s_mov_b32 s39, 0xbfcea1e5
	s_mov_b32 s38, s42
	v_accvgpr_write_b32 a2, v232
	v_mul_f64 v[232:233], v[148:149], s[38:39]
	s_mov_b32 s37, 0xbfe5384d
	s_mov_b32 s36, s30
	v_mul_f64 v[228:229], v[156:157], s[22:23]
	v_fma_f64 v[234:235], s[24:25], v[138:139], v[232:233]
	v_mul_f64 v[246:247], v[142:143], s[38:39]
	v_mul_f64 v[120:121], v[166:167], s[36:37]
	v_accvgpr_write_b32 a0, v230
	v_accvgpr_write_b32 a1, v132
	v_mov_b32_e32 v132, v231
	v_fma_f64 v[230:231], s[16:17], v[144:145], v[228:229]
	v_add_f64 v[234:235], v[66:67], v[234:235]
	v_mul_f64 v[242:243], v[150:151], s[22:23]
	v_fma_f64 v[248:249], v[136:137], s[24:25], -v[246:247]
	v_mul_f64 v[116:117], v[172:173], s[34:35]
	v_fma_f64 v[122:123], s[14:15], v[152:153], v[120:121]
	v_add_f64 v[230:231], v[230:231], v[234:235]
	v_mul_f64 v[238:239], v[158:159], s[36:37]
	v_fma_f64 v[244:245], v[140:141], s[16:17], -v[242:243]
	v_add_f64 v[248:249], v[64:65], v[248:249]
	s_mov_b32 s41, 0x3fefc445
	s_mov_b32 s40, s26
	v_mul_f64 v[114:115], v[178:179], s[18:19]
	v_fma_f64 v[118:119], s[28:29], v[160:161], v[116:117]
	v_add_f64 v[122:123], v[122:123], v[230:231]
	v_mul_f64 v[234:235], v[164:165], s[34:35]
	v_fma_f64 v[240:241], v[146:147], s[14:15], -v[238:239]
	v_add_f64 v[244:245], v[244:245], v[248:249]
	v_mul_f64 v[112:113], v[182:183], s[40:41]
	v_fma_f64 v[110:111], s[2:3], v[168:169], v[114:115]
	v_add_f64 v[118:119], v[118:119], v[122:123]
	v_mul_f64 v[122:123], v[174:175], s[18:19]
	v_fma_f64 v[236:237], v[154:155], s[28:29], -v[234:235]
	v_add_f64 v[240:241], v[240:241], v[244:245]
	v_fma_f64 v[108:109], s[20:21], v[176:177], v[112:113]
	v_add_f64 v[110:111], v[110:111], v[118:119]
	v_mul_f64 v[118:119], v[180:181], s[40:41]
	v_fma_f64 v[230:231], v[162:163], s[2:3], -v[122:123]
	v_add_f64 v[236:237], v[236:237], v[240:241]
	v_add_f64 v[110:111], v[108:109], v[110:111]
	v_fma_f64 v[108:109], v[170:171], s[20:21], -v[118:119]
	v_add_f64 v[230:231], v[230:231], v[236:237]
	v_add_f64 v[108:109], v[108:109], v[230:231]
	v_fma_f64 v[230:231], v[138:139], s[24:25], -v[232:233]
	v_fma_f64 v[228:229], v[144:145], s[16:17], -v[228:229]
	v_add_f64 v[230:231], v[66:67], v[230:231]
	v_fma_f64 v[120:121], v[152:153], s[14:15], -v[120:121]
	v_add_f64 v[228:229], v[228:229], v[230:231]
	;; [unrolled: 2-line block ×5, first 2 shown]
	v_fmac_f64_e32 v[246:247], s[24:25], v[136:137]
	v_add_f64 v[114:115], v[112:113], v[114:115]
	v_fmac_f64_e32 v[242:243], s[16:17], v[140:141]
	v_add_f64 v[112:113], v[64:65], v[246:247]
	v_mul_f64 v[240:241], v[148:149], s[36:37]
	v_mul_f64 v[226:227], v[182:183], s[34:35]
	v_fmac_f64_e32 v[238:239], s[14:15], v[146:147]
	v_add_f64 v[112:113], v[242:243], v[112:113]
	s_mov_b32 s35, 0xbfea55e2
	v_mul_f64 v[236:237], v[156:157], s[40:41]
	v_fma_f64 v[242:243], s[14:15], v[138:139], v[240:241]
	v_mul_f64 v[254:255], v[142:143], s[36:37]
	v_fmac_f64_e32 v[234:235], s[28:29], v[154:155]
	v_add_f64 v[112:113], v[238:239], v[112:113]
	v_mul_f64 v[232:233], v[166:167], s[34:35]
	v_fma_f64 v[238:239], s[20:21], v[144:145], v[236:237]
	v_add_f64 v[242:243], v[66:67], v[242:243]
	v_mul_f64 v[250:251], v[150:151], s[40:41]
	v_fma_f64 v[202:203], v[136:137], s[14:15], -v[254:255]
	v_fmac_f64_e32 v[122:123], s[2:3], v[162:163]
	v_add_f64 v[112:113], v[234:235], v[112:113]
	v_mul_f64 v[228:229], v[172:173], s[42:43]
	v_fma_f64 v[234:235], s[28:29], v[152:153], v[232:233]
	v_add_f64 v[238:239], v[238:239], v[242:243]
	v_mul_f64 v[246:247], v[158:159], s[34:35]
	v_fma_f64 v[252:253], v[140:141], s[20:21], -v[250:251]
	v_add_f64 v[202:203], v[64:65], v[202:203]
	v_fmac_f64_e32 v[118:119], s[20:21], v[170:171]
	v_add_f64 v[112:113], v[122:123], v[112:113]
	v_mul_f64 v[122:123], v[178:179], s[22:23]
	v_fma_f64 v[230:231], s[24:25], v[160:161], v[228:229]
	v_add_f64 v[234:235], v[234:235], v[238:239]
	v_mul_f64 v[242:243], v[164:165], s[42:43]
	v_fma_f64 v[248:249], v[146:147], s[28:29], -v[246:247]
	v_add_f64 v[202:203], v[252:253], v[202:203]
	v_add_f64 v[112:113], v[118:119], v[112:113]
	v_mul_f64 v[120:121], v[182:183], s[18:19]
	v_fma_f64 v[118:119], s[16:17], v[168:169], v[122:123]
	v_add_f64 v[230:231], v[230:231], v[234:235]
	v_mul_f64 v[234:235], v[174:175], s[22:23]
	v_fma_f64 v[244:245], v[154:155], s[24:25], -v[242:243]
	v_add_f64 v[202:203], v[248:249], v[202:203]
	v_fma_f64 v[116:117], s[2:3], v[176:177], v[120:121]
	v_add_f64 v[118:119], v[118:119], v[230:231]
	v_mul_f64 v[230:231], v[180:181], s[18:19]
	v_fma_f64 v[238:239], v[162:163], s[16:17], -v[234:235]
	v_add_f64 v[202:203], v[244:245], v[202:203]
	v_add_f64 v[118:119], v[116:117], v[118:119]
	v_fma_f64 v[116:117], v[170:171], s[2:3], -v[230:231]
	v_add_f64 v[202:203], v[238:239], v[202:203]
	v_mul_f64 v[206:207], v[148:149], s[18:19]
	v_add_f64 v[116:117], v[116:117], v[202:203]
	v_fma_f64 v[202:203], v[160:161], s[24:25], -v[228:229]
	v_fma_f64 v[228:229], v[152:153], s[28:29], -v[232:233]
	;; [unrolled: 1-line block ×4, first 2 shown]
	v_mul_f64 v[210:211], v[156:157], s[30:31]
	v_add_f64 v[236:237], v[66:67], v[236:237]
	v_add_f64 v[126:127], v[126:127], -v[206:207]
	v_mul_f64 v[214:215], v[166:167], s[22:23]
	v_add_f64 v[232:233], v[232:233], v[236:237]
	v_add_f64 v[130:131], v[130:131], -v[210:211]
	v_add_f64 v[126:127], v[66:67], v[126:127]
	v_mul_f64 v[204:205], v[136:137], s[2:3]
	v_mul_f64 v[218:219], v[172:173], s[26:27]
	v_add_f64 v[228:229], v[228:229], v[232:233]
	v_add_f64 v[186:187], v[186:187], -v[214:215]
	v_add_f64 v[126:127], v[130:131], v[126:127]
	v_mul_f64 v[208:209], v[140:141], s[14:15]
	v_mul_f64 v[222:223], v[178:179], s[42:43]
	v_fma_f64 v[122:123], v[168:169], s[16:17], -v[122:123]
	v_add_f64 v[202:203], v[202:203], v[228:229]
	v_add_f64 v[190:191], v[190:191], -v[218:219]
	v_add_f64 v[126:127], v[186:187], v[126:127]
	v_add_f64 v[124:125], v[204:205], v[124:125]
	v_mul_f64 v[212:213], v[146:147], s[16:17]
	v_mul_f64 v[216:217], v[154:155], s[20:21]
	;; [unrolled: 1-line block ×3, first 2 shown]
	v_add_f64 v[122:123], v[122:123], v[202:203]
	v_add_f64 v[194:195], v[194:195], -v[222:223]
	v_add_f64 v[126:127], v[190:191], v[126:127]
	v_add_f64 v[128:129], v[208:209], v[128:129]
	;; [unrolled: 1-line block ×3, first 2 shown]
	v_mul_f64 v[202:203], v[148:149], s[26:27]
	v_mul_f64 v[220:221], v[162:163], s[24:25]
	v_add_f64 v[198:199], v[198:199], -v[226:227]
	v_add_f64 v[126:127], v[194:195], v[126:127]
	v_add_f64 v[130:131], v[224:225], v[196:197]
	;; [unrolled: 1-line block ×5, first 2 shown]
	s_mov_b32 s43, 0x3fedeba7
	s_mov_b32 s42, s18
	v_mul_f64 v[196:197], v[156:157], s[38:39]
	v_fma_f64 v[204:205], s[20:21], v[138:139], v[202:203]
	v_mul_f64 v[216:217], v[142:143], s[26:27]
	v_add_f64 v[126:127], v[198:199], v[126:127]
	v_add_f64 v[186:187], v[220:221], v[192:193]
	v_add_f64 v[124:125], v[184:185], v[124:125]
	v_mul_f64 v[192:193], v[166:167], s[42:43]
	v_fma_f64 v[198:199], s[24:25], v[144:145], v[196:197]
	v_add_f64 v[204:205], v[66:67], v[204:205]
	v_mul_f64 v[212:213], v[150:151], s[38:39]
	v_fma_f64 v[218:219], v[136:137], s[20:21], -v[216:217]
	v_add_f64 v[124:125], v[188:189], v[124:125]
	v_mul_f64 v[188:189], v[172:173], s[22:23]
	v_fma_f64 v[194:195], s[2:3], v[152:153], v[192:193]
	v_add_f64 v[198:199], v[198:199], v[204:205]
	v_mul_f64 v[208:209], v[158:159], s[42:43]
	v_fma_f64 v[214:215], v[140:141], s[24:25], -v[212:213]
	v_add_f64 v[218:219], v[64:65], v[218:219]
	v_add_f64 v[124:125], v[186:187], v[124:125]
	v_mul_f64 v[186:187], v[178:179], s[34:35]
	v_fma_f64 v[190:191], s[16:17], v[160:161], v[188:189]
	v_add_f64 v[194:195], v[194:195], v[198:199]
	v_mul_f64 v[204:205], v[164:165], s[22:23]
	v_fma_f64 v[210:211], v[146:147], s[2:3], -v[208:209]
	v_add_f64 v[214:215], v[214:215], v[218:219]
	;; [unrolled: 7-line block ×3, first 2 shown]
	v_fma_f64 v[128:129], s[14:15], v[176:177], v[184:185]
	v_add_f64 v[130:131], v[130:131], v[190:191]
	v_mul_f64 v[190:191], v[180:181], s[36:37]
	v_fma_f64 v[198:199], v[162:163], s[28:29], -v[194:195]
	v_add_f64 v[206:207], v[206:207], v[210:211]
	v_add_f64 v[130:131], v[128:129], v[130:131]
	v_fma_f64 v[128:129], v[170:171], s[14:15], -v[190:191]
	v_add_f64 v[198:199], v[198:199], v[206:207]
	v_add_f64 v[128:129], v[128:129], v[198:199]
	v_fma_f64 v[198:199], v[138:139], s[20:21], -v[202:203]
	v_fma_f64 v[196:197], v[144:145], s[24:25], -v[196:197]
	v_add_f64 v[198:199], v[66:67], v[198:199]
	v_fma_f64 v[192:193], v[152:153], s[2:3], -v[192:193]
	v_add_f64 v[196:197], v[196:197], v[198:199]
	;; [unrolled: 2-line block ×5, first 2 shown]
	v_fmac_f64_e32 v[216:217], s[20:21], v[136:137]
	v_add_f64 v[186:187], v[184:185], v[186:187]
	v_fmac_f64_e32 v[212:213], s[24:25], v[140:141]
	v_add_f64 v[184:185], v[64:65], v[216:217]
	v_mul_f64 v[210:211], v[148:149], s[34:35]
	v_fmac_f64_e32 v[208:209], s[2:3], v[146:147]
	v_add_f64 v[184:185], v[212:213], v[184:185]
	v_mul_f64 v[206:207], v[156:157], s[18:19]
	v_fma_f64 v[212:213], s[28:29], v[138:139], v[210:211]
	v_mul_f64 v[224:225], v[142:143], s[34:35]
	v_fmac_f64_e32 v[204:205], s[16:17], v[154:155]
	v_add_f64 v[184:185], v[208:209], v[184:185]
	v_mul_f64 v[202:203], v[166:167], s[38:39]
	v_fma_f64 v[208:209], s[2:3], v[144:145], v[206:207]
	v_add_f64 v[212:213], v[66:67], v[212:213]
	v_mul_f64 v[220:221], v[150:151], s[18:19]
	v_fma_f64 v[226:227], v[136:137], s[28:29], -v[224:225]
	v_fmac_f64_e32 v[194:195], s[28:29], v[162:163]
	v_add_f64 v[184:185], v[204:205], v[184:185]
	v_mul_f64 v[196:197], v[172:173], s[30:31]
	v_fma_f64 v[204:205], s[24:25], v[152:153], v[202:203]
	v_add_f64 v[208:209], v[208:209], v[212:213]
	v_mul_f64 v[216:217], v[158:159], s[38:39]
	v_fma_f64 v[222:223], v[140:141], s[2:3], -v[220:221]
	v_add_f64 v[226:227], v[64:65], v[226:227]
	v_fmac_f64_e32 v[190:191], s[14:15], v[170:171]
	v_add_f64 v[184:185], v[194:195], v[184:185]
	v_mul_f64 v[194:195], v[178:179], s[40:41]
	v_fma_f64 v[198:199], s[14:15], v[160:161], v[196:197]
	v_add_f64 v[204:205], v[204:205], v[208:209]
	v_mul_f64 v[212:213], v[164:165], s[30:31]
	v_fma_f64 v[218:219], v[146:147], s[24:25], -v[216:217]
	v_add_f64 v[222:223], v[222:223], v[226:227]
	v_add_f64 v[184:185], v[190:191], v[184:185]
	v_mul_f64 v[192:193], v[182:183], s[22:23]
	v_fma_f64 v[190:191], s[20:21], v[168:169], v[194:195]
	v_add_f64 v[198:199], v[198:199], v[204:205]
	v_mul_f64 v[204:205], v[174:175], s[40:41]
	v_fma_f64 v[214:215], v[154:155], s[14:15], -v[212:213]
	v_add_f64 v[218:219], v[218:219], v[222:223]
	v_fma_f64 v[188:189], s[16:17], v[176:177], v[192:193]
	v_add_f64 v[190:191], v[190:191], v[198:199]
	v_mul_f64 v[198:199], v[180:181], s[22:23]
	v_fma_f64 v[208:209], v[162:163], s[20:21], -v[204:205]
	v_add_f64 v[214:215], v[214:215], v[218:219]
	v_add_f64 v[190:191], v[188:189], v[190:191]
	v_fma_f64 v[188:189], v[170:171], s[16:17], -v[198:199]
	v_add_f64 v[208:209], v[208:209], v[214:215]
	v_add_f64 v[188:189], v[188:189], v[208:209]
	v_fma_f64 v[208:209], v[138:139], s[28:29], -v[210:211]
	s_mov_b32 s23, 0xbfddbe06
	v_fma_f64 v[206:207], v[144:145], s[2:3], -v[206:207]
	v_add_f64 v[208:209], v[66:67], v[208:209]
	v_mul_f64 v[148:149], v[148:149], s[22:23]
	v_add_f64 v[206:207], v[206:207], v[208:209]
	v_fma_f64 v[208:209], s[16:17], v[138:139], v[148:149]
	v_fma_f64 v[138:139], v[138:139], s[16:17], -v[148:149]
	v_add_f64 v[208:209], v[66:67], v[208:209]
	v_add_f64 v[138:139], v[66:67], v[138:139]
	;; [unrolled: 1-line block ×11, first 2 shown]
	v_fma_f64 v[202:203], v[152:153], s[24:25], -v[202:203]
	v_add_f64 v[10:11], v[66:67], v[10:11]
	v_fma_f64 v[196:197], v[160:161], s[14:15], -v[196:197]
	v_add_f64 v[202:203], v[202:203], v[206:207]
	v_add_f64 v[6:7], v[10:11], v[6:7]
	v_fma_f64 v[194:195], v[168:169], s[20:21], -v[194:195]
	v_add_f64 v[196:197], v[196:197], v[202:203]
	v_add_f64 v[2:3], v[6:7], v[2:3]
	;; [unrolled: 1-line block ×3, first 2 shown]
	v_fma_f64 v[192:193], v[176:177], s[16:17], -v[192:193]
	v_add_f64 v[194:195], v[194:195], v[196:197]
	v_fmac_f64_e32 v[224:225], s[28:29], v[136:137]
	v_add_f64 v[6:7], v[6:7], v[72:73]
	v_add_f64 v[194:195], v[192:193], v[194:195]
	v_fmac_f64_e32 v[220:221], s[2:3], v[140:141]
	v_add_f64 v[192:193], v[64:65], v[224:225]
	;; [unrolled: 3-line block ×5, first 2 shown]
	v_mul_f64 v[156:157], v[156:157], s[34:35]
	v_add_f64 v[6:7], v[6:7], v[88:89]
	v_fma_f64 v[120:121], v[176:177], s[2:3], -v[120:121]
	v_fmac_f64_e32 v[254:255], s[14:15], v[136:137]
	v_add_f64 v[192:193], v[204:205], v[192:193]
	v_mul_f64 v[204:205], v[166:167], s[26:27]
	v_fma_f64 v[206:207], s[28:29], v[144:145], v[156:157]
	v_mul_f64 v[142:143], v[142:143], s[22:23]
	v_add_f64 v[6:7], v[6:7], v[92:93]
	v_add_f64 v[122:123], v[120:121], v[122:123]
	v_fmac_f64_e32 v[250:251], s[20:21], v[140:141]
	v_add_f64 v[120:121], v[64:65], v[254:255]
	v_mul_f64 v[172:173], v[172:173], s[18:19]
	v_fma_f64 v[166:167], s[20:21], v[152:153], v[204:205]
	v_add_f64 v[206:207], v[206:207], v[208:209]
	v_mul_f64 v[150:151], v[150:151], s[34:35]
	v_fma_f64 v[210:211], v[136:137], s[16:17], -v[142:143]
	v_fmac_f64_e32 v[142:143], s[16:17], v[136:137]
	v_add_f64 v[6:7], v[6:7], v[96:97]
	v_fmac_f64_e32 v[246:247], s[28:29], v[146:147]
	v_add_f64 v[120:121], v[250:251], v[120:121]
	v_fma_f64 v[202:203], s[2:3], v[160:161], v[172:173]
	v_add_f64 v[166:167], v[166:167], v[206:207]
	v_mul_f64 v[158:159], v[158:159], s[26:27]
	v_fma_f64 v[208:209], v[140:141], s[28:29], -v[150:151]
	v_add_f64 v[210:211], v[64:65], v[210:211]
	v_fma_f64 v[144:145], v[144:145], s[28:29], -v[156:157]
	v_fmac_f64_e32 v[150:151], s[28:29], v[140:141]
	v_add_f64 v[136:137], v[64:65], v[142:143]
	v_add_f64 v[6:7], v[6:7], v[100:101]
	v_fmac_f64_e32 v[242:243], s[24:25], v[154:155]
	v_add_f64 v[120:121], v[246:247], v[120:121]
	v_fmac_f64_e32 v[198:199], s[16:17], v[170:171]
	v_mul_f64 v[178:179], v[178:179], s[36:37]
	v_add_f64 v[166:167], v[202:203], v[166:167]
	v_mul_f64 v[202:203], v[164:165], s[18:19]
	v_fma_f64 v[206:207], v[146:147], s[20:21], -v[158:159]
	v_add_f64 v[208:209], v[208:209], v[210:211]
	v_fma_f64 v[152:153], v[152:153], s[20:21], -v[204:205]
	v_add_f64 v[138:139], v[144:145], v[138:139]
	v_fmac_f64_e32 v[158:159], s[20:21], v[146:147]
	v_add_f64 v[136:137], v[150:151], v[136:137]
	v_add_f64 v[6:7], v[6:7], v[8:9]
	v_accvgpr_read_b32 v232, a2
	v_fmac_f64_e32 v[234:235], s[16:17], v[162:163]
	v_add_f64 v[120:121], v[242:243], v[120:121]
	v_add_f64 v[192:193], v[198:199], v[192:193]
	v_mul_f64 v[182:183], v[182:183], s[38:39]
	v_fma_f64 v[198:199], s[14:15], v[168:169], v[178:179]
	v_mul_f64 v[174:175], v[174:175], s[36:37]
	v_fma_f64 v[164:165], v[154:155], s[2:3], -v[202:203]
	v_add_f64 v[206:207], v[206:207], v[208:209]
	v_fma_f64 v[160:161], v[160:161], s[2:3], -v[172:173]
	v_add_f64 v[138:139], v[152:153], v[138:139]
	v_fmac_f64_e32 v[202:203], s[2:3], v[154:155]
	v_add_f64 v[136:137], v[158:159], v[136:137]
	v_add_f64 v[4:5], v[6:7], v[4:5]
	v_fmac_f64_e32 v[230:231], s[2:3], v[170:171]
	v_add_f64 v[120:121], v[234:235], v[120:121]
	v_fma_f64 v[196:197], s[24:25], v[176:177], v[182:183]
	v_add_f64 v[166:167], v[198:199], v[166:167]
	v_mul_f64 v[180:181], v[180:181], s[38:39]
	v_fma_f64 v[198:199], v[162:163], s[14:15], -v[174:175]
	v_add_f64 v[164:165], v[164:165], v[206:207]
	v_fma_f64 v[168:169], v[168:169], s[14:15], -v[178:179]
	v_add_f64 v[138:139], v[160:161], v[138:139]
	v_fmac_f64_e32 v[174:175], s[14:15], v[162:163]
	v_add_f64 v[136:137], v[202:203], v[136:137]
	v_add_f64 v[0:1], v[4:5], v[0:1]
	v_mul_lo_u16_e32 v4, 13, v232
	v_add_f64 v[120:121], v[230:231], v[120:121]
	v_accvgpr_read_b32 v230, a0
	v_add_f64 v[166:167], v[196:197], v[166:167]
	v_fma_f64 v[196:197], v[170:171], s[24:25], -v[180:181]
	v_add_f64 v[164:165], v[198:199], v[164:165]
	v_fma_f64 v[176:177], v[176:177], s[24:25], -v[182:183]
	v_add_f64 v[138:139], v[168:169], v[138:139]
	v_fmac_f64_e32 v[180:181], s[24:25], v[170:171]
	v_add_f64 v[136:137], v[174:175], v[136:137]
	v_lshl_add_u32 v4, v4, 4, v132
	v_accvgpr_read_b32 v132, a1
	v_add_f64 v[164:165], v[196:197], v[164:165]
	v_add_f64 v[138:139], v[176:177], v[138:139]
	;; [unrolled: 1-line block ×3, first 2 shown]
	ds_write_b128 v4, v[0:3]
	ds_write_b128 v4, v[136:139] offset:16
	ds_write_b128 v4, v[192:195] offset:32
	;; [unrolled: 1-line block ×12, first 2 shown]
.LBB0_17:
	s_or_b64 exec, exec, s[10:11]
	s_waitcnt lgkmcnt(0)
	; wave barrier
	s_waitcnt lgkmcnt(0)
	ds_read_b128 v[4:7], v200
	ds_read_b128 v[0:3], v200 offset:416
	ds_read_b128 v[8:11], v200 offset:832
	;; [unrolled: 1-line block ×8, first 2 shown]
	s_waitcnt lgkmcnt(7)
	v_mul_f64 v[88:89], v[26:27], v[2:3]
	v_fmac_f64_e32 v[88:89], v[24:25], v[0:1]
	v_mul_f64 v[0:1], v[26:27], v[0:1]
	v_fma_f64 v[0:1], v[24:25], v[2:3], -v[0:1]
	s_waitcnt lgkmcnt(6)
	v_mul_f64 v[2:3], v[22:23], v[10:11]
	v_fmac_f64_e32 v[2:3], v[20:21], v[8:9]
	v_mul_f64 v[8:9], v[22:23], v[8:9]
	v_fma_f64 v[8:9], v[20:21], v[10:11], -v[8:9]
	s_waitcnt lgkmcnt(5)
	v_mul_f64 v[10:11], v[18:19], v[66:67]
	v_fmac_f64_e32 v[10:11], v[16:17], v[64:65]
	v_mul_f64 v[18:19], v[18:19], v[64:65]
	s_waitcnt lgkmcnt(4)
	v_mul_f64 v[64:65], v[14:15], v[70:71]
	v_mul_f64 v[14:15], v[14:15], v[68:69]
	s_waitcnt lgkmcnt(0)
	v_mul_f64 v[22:23], v[30:31], v[86:87]
	v_mul_f64 v[24:25], v[30:31], v[84:85]
	v_fma_f64 v[16:17], v[16:17], v[66:67], -v[18:19]
	v_fmac_f64_e32 v[64:65], v[12:13], v[68:69]
	v_fma_f64 v[66:67], v[12:13], v[70:71], -v[14:15]
	v_mul_f64 v[68:69], v[42:43], v[74:75]
	v_mul_f64 v[12:13], v[42:43], v[72:73]
	;; [unrolled: 1-line block ×4, first 2 shown]
	v_fmac_f64_e32 v[22:23], v[28:29], v[84:85]
	v_fma_f64 v[24:25], v[28:29], v[86:87], -v[24:25]
	s_mov_b32 s16, 0xa2cf5039
	v_fmac_f64_e32 v[68:69], v[40:41], v[72:73]
	v_fma_f64 v[40:41], v[40:41], v[74:75], -v[12:13]
	v_mul_f64 v[12:13], v[38:39], v[78:79]
	v_mul_f64 v[14:15], v[38:39], v[76:77]
	v_fmac_f64_e32 v[18:19], v[32:33], v[80:81]
	v_fma_f64 v[20:21], v[32:33], v[82:83], -v[20:21]
	v_add_f64 v[32:33], v[88:89], v[22:23]
	v_add_f64 v[30:31], v[0:1], -v[24:25]
	s_mov_b32 s3, 0x3fe491b7
	s_mov_b32 s2, 0x523c161c
	;; [unrolled: 1-line block ×5, first 2 shown]
	v_fmac_f64_e32 v[12:13], v[36:37], v[76:77]
	v_fma_f64 v[14:15], v[36:37], v[78:79], -v[14:15]
	v_add_f64 v[34:35], v[0:1], v[24:25]
	v_add_f64 v[36:37], v[2:3], v[18:19]
	v_add_f64 v[28:29], v[88:89], -v[22:23]
	v_add_f64 v[72:73], v[2:3], -v[18:19]
	;; [unrolled: 1-line block ×3, first 2 shown]
	v_mul_f64 v[2:3], v[30:31], s[2:3]
	s_mov_b32 s11, 0x3fef838b
	s_mov_b32 s14, 0xe8584cab
	v_fma_f64 v[0:1], s[16:17], v[32:33], v[4:5]
	s_mov_b32 s19, 0x3fc63a1a
	v_add_f64 v[38:39], v[8:9], v[20:21]
	v_add_f64 v[42:43], v[10:11], v[12:13]
	v_add_f64 v[76:77], v[10:11], -v[12:13]
	v_add_f64 v[78:79], v[16:17], -v[14:15]
	v_mul_f64 v[12:13], v[28:29], s[2:3]
	v_fmac_f64_e32 v[2:3], s[10:11], v[74:75]
	s_mov_b32 s15, 0x3febb67a
	s_mov_b32 s20, 0x748a0bf8
	v_fma_f64 v[10:11], s[16:17], v[34:35], v[6:7]
	v_fmac_f64_e32 v[0:1], s[18:19], v[36:37]
	s_mov_b32 s22, 0x42522d1b
	v_add_f64 v[70:71], v[16:17], v[14:15]
	v_fmac_f64_e32 v[12:13], s[10:11], v[72:73]
	v_fmac_f64_e32 v[2:3], s[14:15], v[78:79]
	v_add_f64 v[82:83], v[66:67], -v[40:41]
	s_mov_b32 s21, 0x3fd5e3a8
	v_fmac_f64_e32 v[10:11], s[18:19], v[38:39]
	v_fmac_f64_e32 v[0:1], -0.5, v[42:43]
	v_add_f64 v[84:85], v[64:65], v[68:69]
	s_mov_b32 s23, 0xbfee11f6
	v_fmac_f64_e32 v[12:13], s[14:15], v[76:77]
	v_add_f64 v[80:81], v[64:65], -v[68:69]
	v_fmac_f64_e32 v[2:3], s[20:21], v[82:83]
	v_fmac_f64_e32 v[10:11], -0.5, v[70:71]
	v_add_f64 v[86:87], v[66:67], v[40:41]
	v_fmac_f64_e32 v[0:1], s[22:23], v[84:85]
	v_fmac_f64_e32 v[12:13], s[20:21], v[80:81]
	;; [unrolled: 1-line block ×3, first 2 shown]
	v_add_f64 v[8:9], v[0:1], -v[2:3]
	v_add_f64 v[10:11], v[12:13], v[10:11]
	v_mov_b64_e32 v[0:1], v[8:9]
	v_fmac_f64_e32 v[0:1], 2.0, v[2:3]
	v_mov_b64_e32 v[2:3], v[10:11]
	s_mov_b32 s3, 0xbfe491b7
	v_fmac_f64_e32 v[2:3], -2.0, v[12:13]
	v_mul_f64 v[18:19], v[82:83], s[2:3]
	v_fma_f64 v[12:13], s[16:17], v[84:85], v[4:5]
	v_mul_f64 v[20:21], v[80:81], s[2:3]
	v_fmac_f64_e32 v[18:19], s[10:11], v[30:31]
	s_mov_b32 s25, 0xbfebb67a
	s_mov_b32 s24, s14
	v_fma_f64 v[14:15], s[16:17], v[86:87], v[6:7]
	v_fmac_f64_e32 v[12:13], s[18:19], v[32:33]
	v_fmac_f64_e32 v[20:21], s[10:11], v[28:29]
	;; [unrolled: 1-line block ×4, first 2 shown]
	v_fmac_f64_e32 v[12:13], -0.5, v[42:43]
	v_fmac_f64_e32 v[20:21], s[24:25], v[76:77]
	v_fmac_f64_e32 v[18:19], s[20:21], v[74:75]
	v_fmac_f64_e32 v[14:15], -0.5, v[70:71]
	v_fmac_f64_e32 v[12:13], s[22:23], v[36:37]
	v_fmac_f64_e32 v[20:21], s[20:21], v[72:73]
	;; [unrolled: 1-line block ×3, first 2 shown]
	v_add_f64 v[12:13], v[12:13], -v[18:19]
	v_add_f64 v[14:15], v[20:21], v[14:15]
	v_mov_b64_e32 v[16:17], v[12:13]
	v_fmac_f64_e32 v[16:17], 2.0, v[18:19]
	v_mov_b64_e32 v[18:19], v[14:15]
	v_fmac_f64_e32 v[18:19], -2.0, v[20:21]
	v_add_f64 v[20:21], v[80:81], v[28:29]
	v_add_f64 v[22:23], v[82:83], v[30:31]
	v_mul_f64 v[80:81], v[80:81], s[10:11]
	v_mul_f64 v[82:83], v[82:83], s[10:11]
	v_add_f64 v[24:25], v[20:21], -v[72:73]
	v_add_f64 v[26:27], v[22:23], -v[74:75]
	v_fma_f64 v[72:73], v[72:73], s[2:3], -v[80:81]
	v_fma_f64 v[74:75], v[74:75], s[2:3], -v[82:83]
	v_add_f64 v[92:93], v[36:37], v[32:33]
	v_add_f64 v[94:95], v[38:39], v[34:35]
	v_fmac_f64_e32 v[72:73], s[14:15], v[76:77]
	v_fmac_f64_e32 v[74:75], s[14:15], v[78:79]
	;; [unrolled: 1-line block ×4, first 2 shown]
	v_add_f64 v[28:29], v[42:43], v[92:93]
	v_add_f64 v[30:31], v[70:71], v[94:95]
	;; [unrolled: 1-line block ×10, first 2 shown]
	v_fmac_f64_e32 v[4:5], s[16:17], v[36:37]
	v_fmac_f64_e32 v[6:7], s[16:17], v[38:39]
	;; [unrolled: 1-line block ×4, first 2 shown]
	v_add_f64 v[96:97], v[84:85], v[92:93]
	v_add_f64 v[98:99], v[86:87], v[94:95]
	v_fmac_f64_e32 v[4:5], -0.5, v[42:43]
	v_fmac_f64_e32 v[6:7], -0.5, v[70:71]
	;; [unrolled: 1-line block ×4, first 2 shown]
	v_fmac_f64_e32 v[4:5], s[22:23], v[32:33]
	v_fmac_f64_e32 v[6:7], s[22:23], v[34:35]
	;; [unrolled: 1-line block ×4, first 2 shown]
	v_add_f64 v[4:5], v[4:5], -v[74:75]
	v_add_f64 v[6:7], v[72:73], v[6:7]
	v_mul_f64 v[88:89], v[24:25], s[14:15]
	v_mul_f64 v[90:91], v[26:27], s[14:15]
	v_mov_b64_e32 v[24:25], v[20:21]
	v_mov_b64_e32 v[26:27], v[22:23]
	v_mov_b64_e32 v[32:33], v[4:5]
	v_mov_b64_e32 v[34:35], v[6:7]
	v_fmac_f64_e32 v[24:25], 2.0, v[90:91]
	v_fmac_f64_e32 v[26:27], -2.0, v[88:89]
	v_fmac_f64_e32 v[32:33], 2.0, v[74:75]
	v_fmac_f64_e32 v[34:35], -2.0, v[72:73]
	s_waitcnt lgkmcnt(0)
	; wave barrier
	ds_write_b128 v201, v[28:31]
	ds_write_b128 v201, v[8:11] offset:208
	ds_write_b128 v201, v[12:15] offset:416
	;; [unrolled: 1-line block ×8, first 2 shown]
	s_waitcnt lgkmcnt(0)
	; wave barrier
	s_waitcnt lgkmcnt(0)
	ds_read_b128 v[16:19], v200
	ds_read_b128 v[12:15], v200 offset:416
	ds_read_b128 v[32:35], v200 offset:1872
	;; [unrolled: 1-line block ×7, first 2 shown]
	v_add_u32_e32 v37, 0x340, v132
	v_add_u32_e32 v36, 0x4e0, v132
	s_and_saveexec_b64 s[2:3], s[0:1]
	s_cbranch_execz .LBB0_19
; %bb.18:
	ds_read_b128 v[0:3], v200 offset:1664
	ds_read_b128 v[104:107], v200 offset:3536
.LBB0_19:
	s_or_b64 exec, exec, s[2:3]
	s_waitcnt lgkmcnt(5)
	v_mul_f64 v[38:39], v[50:51], v[34:35]
	v_fmac_f64_e32 v[38:39], v[48:49], v[32:33]
	v_mul_f64 v[32:33], v[50:51], v[32:33]
	v_fma_f64 v[32:33], v[48:49], v[34:35], -v[32:33]
	s_waitcnt lgkmcnt(4)
	v_mul_f64 v[34:35], v[54:55], v[30:31]
	v_fmac_f64_e32 v[34:35], v[52:53], v[28:29]
	v_mul_f64 v[28:29], v[54:55], v[28:29]
	v_fma_f64 v[28:29], v[52:53], v[30:31], -v[28:29]
	s_waitcnt lgkmcnt(1)
	v_mul_f64 v[30:31], v[58:59], v[26:27]
	s_waitcnt lgkmcnt(0)
	v_mul_f64 v[42:43], v[62:63], v[22:23]
	v_fmac_f64_e32 v[30:31], v[56:57], v[24:25]
	v_mul_f64 v[24:25], v[58:59], v[24:25]
	v_fmac_f64_e32 v[42:43], v[60:61], v[20:21]
	v_mul_f64 v[20:21], v[62:63], v[20:21]
	v_fma_f64 v[40:41], v[56:57], v[26:27], -v[24:25]
	v_fma_f64 v[48:49], v[60:61], v[22:23], -v[20:21]
	v_add_f64 v[20:21], v[16:17], -v[38:39]
	v_add_f64 v[22:23], v[18:19], -v[32:33]
	v_fma_f64 v[16:17], v[16:17], 2.0, -v[20:21]
	v_fma_f64 v[18:19], v[18:19], 2.0, -v[22:23]
	v_add_f64 v[24:25], v[12:13], -v[34:35]
	v_add_f64 v[26:27], v[14:15], -v[28:29]
	v_add_f64 v[28:29], v[8:9], -v[30:31]
	v_add_f64 v[30:31], v[10:11], -v[40:41]
	v_add_f64 v[32:33], v[4:5], -v[42:43]
	v_add_f64 v[34:35], v[6:7], -v[48:49]
	v_fma_f64 v[12:13], v[12:13], 2.0, -v[24:25]
	v_fma_f64 v[14:15], v[14:15], 2.0, -v[26:27]
	;; [unrolled: 1-line block ×6, first 2 shown]
	ds_write_b128 v133, v[16:19]
	ds_write_b128 v133, v[20:23] offset:1872
	ds_write_b128 v133, v[12:15] offset:416
	;; [unrolled: 1-line block ×7, first 2 shown]
	s_and_saveexec_b64 s[2:3], s[0:1]
	s_cbranch_execz .LBB0_21
; %bb.20:
	v_mul_f64 v[4:5], v[46:47], v[104:105]
	v_fma_f64 v[4:5], v[44:45], v[106:107], -v[4:5]
	v_add_f64 v[4:5], v[2:3], -v[4:5]
	v_fma_f64 v[8:9], v[2:3], 2.0, -v[4:5]
	v_mul_f64 v[2:3], v[46:47], v[106:107]
	v_fmac_f64_e32 v[2:3], v[44:45], v[104:105]
	v_add_f64 v[2:3], v[0:1], -v[2:3]
	v_fma_f64 v[6:7], v[0:1], 2.0, -v[2:3]
	ds_write_b128 v133, v[6:9] offset:1664
	ds_write_b128 v133, v[2:5] offset:3536
.LBB0_21:
	s_or_b64 exec, exec, s[2:3]
	s_waitcnt lgkmcnt(0)
	; wave barrier
	s_waitcnt lgkmcnt(0)
	s_and_b64 exec, exec, vcc
	s_cbranch_execz .LBB0_23
; %bb.22:
	global_load_dwordx4 v[0:3], v135, s[8:9]
	global_load_dwordx4 v[4:7], v135, s[8:9] offset:288
	global_load_dwordx4 v[8:11], v135, s[8:9] offset:576
	;; [unrolled: 1-line block ×11, first 2 shown]
	v_mad_u64_u32 v[74:75], s[0:1], s6, v134, 0
	v_mad_u64_u32 v[76:77], s[2:3], s4, v232, 0
	v_mov_b32_e32 v78, v75
	v_mov_b32_e32 v80, v77
	v_mad_u64_u32 v[78:79], s[6:7], s7, v134, v[78:79]
	v_mov_b32_e32 v72, s12
	v_mov_b32_e32 v73, s13
	;; [unrolled: 3-line block ×3, first 2 shown]
	v_lshl_add_u64 v[72:73], v[74:75], 4, v[72:73]
	v_mov_b32_e32 v93, 0x120
	v_lshl_add_u64 v[72:73], v[76:77], 4, v[72:73]
	s_mul_i32 s2, s5, 0x120
	v_mad_u64_u32 v[74:75], s[6:7], s4, v93, v[72:73]
	v_lshl_add_u32 v92, v230, 4, v135
	ds_read_b128 v[48:51], v133
	ds_read_b128 v[52:55], v92 offset:288
	ds_read_b128 v[56:59], v92 offset:576
	;; [unrolled: 1-line block ×5, first 2 shown]
	v_add_u32_e32 v75, s2, v75
	v_mad_u64_u32 v[76:77], s[6:7], s4, v93, v[74:75]
	s_mov_b32 s0, 0x11811812
	v_add_u32_e32 v77, s2, v77
	s_mov_b32 s1, 0x3f718118
	v_mad_u64_u32 v[78:79], s[6:7], s4, v93, v[76:77]
	v_add_u32_e32 v79, s2, v79
	v_mad_u64_u32 v[80:81], s[6:7], s4, v93, v[78:79]
	v_add_u32_e32 v81, s2, v81
	s_waitcnt vmcnt(11) lgkmcnt(5)
	v_mul_f64 v[82:83], v[50:51], v[2:3]
	v_mul_f64 v[2:3], v[48:49], v[2:3]
	s_waitcnt vmcnt(10) lgkmcnt(4)
	v_mul_f64 v[84:85], v[54:55], v[6:7]
	v_mul_f64 v[6:7], v[52:53], v[6:7]
	;; [unrolled: 3-line block ×4, first 2 shown]
	v_fmac_f64_e32 v[82:83], v[48:49], v[0:1]
	v_fma_f64 v[2:3], v[0:1], v[50:51], -v[2:3]
	v_fmac_f64_e32 v[84:85], v[52:53], v[4:5]
	v_fma_f64 v[6:7], v[4:5], v[54:55], -v[6:7]
	;; [unrolled: 2-line block ×4, first 2 shown]
	v_mul_f64 v[0:1], v[82:83], s[0:1]
	v_mul_f64 v[2:3], v[2:3], s[0:1]
	;; [unrolled: 1-line block ×8, first 2 shown]
	global_store_dwordx4 v[72:73], v[0:3], off
	global_store_dwordx4 v[74:75], v[4:7], off
	;; [unrolled: 1-line block ×4, first 2 shown]
	s_waitcnt vmcnt(11) lgkmcnt(1)
	v_mul_f64 v[90:91], v[66:67], v[18:19]
	v_mul_f64 v[18:19], v[64:65], v[18:19]
	s_waitcnt vmcnt(10) lgkmcnt(0)
	v_mul_f64 v[0:1], v[70:71], v[22:23]
	v_mul_f64 v[2:3], v[68:69], v[22:23]
	ds_read_b128 v[4:7], v92 offset:1728
	v_fmac_f64_e32 v[90:91], v[64:65], v[16:17]
	v_fma_f64 v[18:19], v[16:17], v[66:67], -v[18:19]
	v_fmac_f64_e32 v[0:1], v[68:69], v[20:21]
	v_fma_f64 v[2:3], v[20:21], v[70:71], -v[2:3]
	v_mad_u64_u32 v[12:13], s[6:7], s4, v93, v[80:81]
	v_mul_f64 v[16:17], v[90:91], s[0:1]
	v_mul_f64 v[18:19], v[18:19], s[0:1]
	;; [unrolled: 1-line block ×4, first 2 shown]
	v_add_u32_e32 v13, s2, v13
	global_store_dwordx4 v[80:81], v[16:19], off
	global_store_dwordx4 v[12:13], v[0:3], off
	ds_read_b128 v[0:3], v92 offset:2016
	s_waitcnt vmcnt(11) lgkmcnt(1)
	v_mul_f64 v[8:9], v[6:7], v[26:27]
	v_fmac_f64_e32 v[8:9], v[4:5], v[24:25]
	v_mul_f64 v[4:5], v[4:5], v[26:27]
	v_fma_f64 v[4:5], v[24:25], v[6:7], -v[4:5]
	v_mul_f64 v[10:11], v[4:5], s[0:1]
	s_waitcnt vmcnt(10) lgkmcnt(0)
	v_mul_f64 v[4:5], v[2:3], v[30:31]
	v_fmac_f64_e32 v[4:5], v[0:1], v[28:29]
	v_mul_f64 v[0:1], v[0:1], v[30:31]
	v_mad_u64_u32 v[12:13], s[6:7], s4, v93, v[12:13]
	v_fma_f64 v[0:1], v[28:29], v[2:3], -v[0:1]
	v_mul_f64 v[8:9], v[8:9], s[0:1]
	v_add_u32_e32 v13, s2, v13
	v_mul_f64 v[6:7], v[0:1], s[0:1]
	ds_read_b128 v[0:3], v92 offset:2304
	global_store_dwordx4 v[12:13], v[8:11], off
	v_mad_u64_u32 v[12:13], s[6:7], s4, v93, v[12:13]
	v_mul_f64 v[4:5], v[4:5], s[0:1]
	v_add_u32_e32 v13, s2, v13
	global_store_dwordx4 v[12:13], v[4:7], off
	ds_read_b128 v[4:7], v92 offset:2592
	s_waitcnt vmcnt(11) lgkmcnt(1)
	v_mul_f64 v[8:9], v[2:3], v[34:35]
	v_fmac_f64_e32 v[8:9], v[0:1], v[32:33]
	v_mul_f64 v[0:1], v[0:1], v[34:35]
	v_fma_f64 v[0:1], v[32:33], v[2:3], -v[0:1]
	v_mul_f64 v[10:11], v[0:1], s[0:1]
	v_mad_u64_u32 v[12:13], s[6:7], s4, v93, v[12:13]
	s_waitcnt vmcnt(10) lgkmcnt(0)
	v_mul_f64 v[0:1], v[6:7], v[38:39]
	v_mul_f64 v[2:3], v[4:5], v[38:39]
	;; [unrolled: 1-line block ×3, first 2 shown]
	v_add_u32_e32 v13, s2, v13
	v_fmac_f64_e32 v[0:1], v[4:5], v[36:37]
	v_fma_f64 v[2:3], v[36:37], v[6:7], -v[2:3]
	ds_read_b128 v[4:7], v92 offset:2880
	global_store_dwordx4 v[12:13], v[8:11], off
	v_mad_u64_u32 v[12:13], s[6:7], s4, v93, v[12:13]
	v_mul_f64 v[0:1], v[0:1], s[0:1]
	v_mul_f64 v[2:3], v[2:3], s[0:1]
	v_add_u32_e32 v13, s2, v13
	global_store_dwordx4 v[12:13], v[0:3], off
	ds_read_b128 v[0:3], v92 offset:3168
	s_waitcnt vmcnt(11) lgkmcnt(1)
	v_mul_f64 v[8:9], v[6:7], v[42:43]
	v_fmac_f64_e32 v[8:9], v[4:5], v[40:41]
	v_mul_f64 v[4:5], v[4:5], v[42:43]
	v_fma_f64 v[4:5], v[40:41], v[6:7], -v[4:5]
	v_mul_f64 v[10:11], v[4:5], s[0:1]
	v_mad_u64_u32 v[12:13], s[6:7], s4, v93, v[12:13]
	s_waitcnt vmcnt(10) lgkmcnt(0)
	v_mul_f64 v[4:5], v[2:3], v[46:47]
	v_mul_f64 v[8:9], v[8:9], s[0:1]
	v_add_u32_e32 v13, s2, v13
	v_fmac_f64_e32 v[4:5], v[0:1], v[44:45]
	v_mul_f64 v[0:1], v[0:1], v[46:47]
	global_store_dwordx4 v[12:13], v[8:11], off
	v_fma_f64 v[0:1], v[44:45], v[2:3], -v[0:1]
	v_mad_u64_u32 v[12:13], s[6:7], s4, v93, v[12:13]
	v_mul_f64 v[4:5], v[4:5], s[0:1]
	v_mul_f64 v[6:7], v[0:1], s[0:1]
	v_add_u32_e32 v13, s2, v13
	global_store_dwordx4 v[12:13], v[4:7], off
	global_load_dwordx4 v[0:3], v135, s[8:9] offset:3456
	ds_read_b128 v[4:7], v92 offset:3456
	s_waitcnt vmcnt(0) lgkmcnt(0)
	v_mul_f64 v[8:9], v[6:7], v[2:3]
	v_mul_f64 v[2:3], v[4:5], v[2:3]
	v_fmac_f64_e32 v[8:9], v[4:5], v[0:1]
	v_fma_f64 v[0:1], v[0:1], v[6:7], -v[2:3]
	v_mul_f64 v[8:9], v[8:9], s[0:1]
	v_mul_f64 v[10:11], v[0:1], s[0:1]
	v_mad_u64_u32 v[0:1], s[0:1], s4, v93, v[12:13]
	v_add_u32_e32 v1, s2, v1
	global_store_dwordx4 v[0:1], v[8:11], off
.LBB0_23:
	s_endpgm
	.section	.rodata,"a",@progbits
	.p2align	6, 0x0
	.amdhsa_kernel bluestein_single_fwd_len234_dim1_dp_op_CI_CI
		.amdhsa_group_segment_fixed_size 7488
		.amdhsa_private_segment_fixed_size 0
		.amdhsa_kernarg_size 104
		.amdhsa_user_sgpr_count 2
		.amdhsa_user_sgpr_dispatch_ptr 0
		.amdhsa_user_sgpr_queue_ptr 0
		.amdhsa_user_sgpr_kernarg_segment_ptr 1
		.amdhsa_user_sgpr_dispatch_id 0
		.amdhsa_user_sgpr_kernarg_preload_length 0
		.amdhsa_user_sgpr_kernarg_preload_offset 0
		.amdhsa_user_sgpr_private_segment_size 0
		.amdhsa_uses_dynamic_stack 0
		.amdhsa_enable_private_segment 0
		.amdhsa_system_sgpr_workgroup_id_x 1
		.amdhsa_system_sgpr_workgroup_id_y 0
		.amdhsa_system_sgpr_workgroup_id_z 0
		.amdhsa_system_sgpr_workgroup_info 0
		.amdhsa_system_vgpr_workitem_id 0
		.amdhsa_next_free_vgpr 260
		.amdhsa_next_free_sgpr 48
		.amdhsa_accum_offset 256
		.amdhsa_reserve_vcc 1
		.amdhsa_float_round_mode_32 0
		.amdhsa_float_round_mode_16_64 0
		.amdhsa_float_denorm_mode_32 3
		.amdhsa_float_denorm_mode_16_64 3
		.amdhsa_dx10_clamp 1
		.amdhsa_ieee_mode 1
		.amdhsa_fp16_overflow 0
		.amdhsa_tg_split 0
		.amdhsa_exception_fp_ieee_invalid_op 0
		.amdhsa_exception_fp_denorm_src 0
		.amdhsa_exception_fp_ieee_div_zero 0
		.amdhsa_exception_fp_ieee_overflow 0
		.amdhsa_exception_fp_ieee_underflow 0
		.amdhsa_exception_fp_ieee_inexact 0
		.amdhsa_exception_int_div_zero 0
	.end_amdhsa_kernel
	.text
.Lfunc_end0:
	.size	bluestein_single_fwd_len234_dim1_dp_op_CI_CI, .Lfunc_end0-bluestein_single_fwd_len234_dim1_dp_op_CI_CI
                                        ; -- End function
	.section	.AMDGPU.csdata,"",@progbits
; Kernel info:
; codeLenInByte = 14744
; NumSgprs: 54
; NumVgprs: 256
; NumAgprs: 4
; TotalNumVgprs: 260
; ScratchSize: 0
; MemoryBound: 0
; FloatMode: 240
; IeeeMode: 1
; LDSByteSize: 7488 bytes/workgroup (compile time only)
; SGPRBlocks: 6
; VGPRBlocks: 32
; NumSGPRsForWavesPerEU: 54
; NumVGPRsForWavesPerEU: 260
; AccumOffset: 256
; Occupancy: 1
; WaveLimiterHint : 1
; COMPUTE_PGM_RSRC2:SCRATCH_EN: 0
; COMPUTE_PGM_RSRC2:USER_SGPR: 2
; COMPUTE_PGM_RSRC2:TRAP_HANDLER: 0
; COMPUTE_PGM_RSRC2:TGID_X_EN: 1
; COMPUTE_PGM_RSRC2:TGID_Y_EN: 0
; COMPUTE_PGM_RSRC2:TGID_Z_EN: 0
; COMPUTE_PGM_RSRC2:TIDIG_COMP_CNT: 0
; COMPUTE_PGM_RSRC3_GFX90A:ACCUM_OFFSET: 63
; COMPUTE_PGM_RSRC3_GFX90A:TG_SPLIT: 0
	.text
	.p2alignl 6, 3212836864
	.fill 256, 4, 3212836864
	.type	__hip_cuid_8775df6f2adae8b2,@object ; @__hip_cuid_8775df6f2adae8b2
	.section	.bss,"aw",@nobits
	.globl	__hip_cuid_8775df6f2adae8b2
__hip_cuid_8775df6f2adae8b2:
	.byte	0                               ; 0x0
	.size	__hip_cuid_8775df6f2adae8b2, 1

	.ident	"AMD clang version 19.0.0git (https://github.com/RadeonOpenCompute/llvm-project roc-6.4.0 25133 c7fe45cf4b819c5991fe208aaa96edf142730f1d)"
	.section	".note.GNU-stack","",@progbits
	.addrsig
	.addrsig_sym __hip_cuid_8775df6f2adae8b2
	.amdgpu_metadata
---
amdhsa.kernels:
  - .agpr_count:     4
    .args:
      - .actual_access:  read_only
        .address_space:  global
        .offset:         0
        .size:           8
        .value_kind:     global_buffer
      - .actual_access:  read_only
        .address_space:  global
        .offset:         8
        .size:           8
        .value_kind:     global_buffer
      - .actual_access:  read_only
        .address_space:  global
        .offset:         16
        .size:           8
        .value_kind:     global_buffer
      - .actual_access:  read_only
        .address_space:  global
        .offset:         24
        .size:           8
        .value_kind:     global_buffer
      - .actual_access:  read_only
        .address_space:  global
        .offset:         32
        .size:           8
        .value_kind:     global_buffer
      - .offset:         40
        .size:           8
        .value_kind:     by_value
      - .address_space:  global
        .offset:         48
        .size:           8
        .value_kind:     global_buffer
      - .address_space:  global
        .offset:         56
        .size:           8
        .value_kind:     global_buffer
      - .address_space:  global
        .offset:         64
        .size:           8
        .value_kind:     global_buffer
      - .address_space:  global
        .offset:         72
        .size:           8
        .value_kind:     global_buffer
      - .offset:         80
        .size:           4
        .value_kind:     by_value
      - .address_space:  global
        .offset:         88
        .size:           8
        .value_kind:     global_buffer
      - .address_space:  global
        .offset:         96
        .size:           8
        .value_kind:     global_buffer
    .group_segment_fixed_size: 7488
    .kernarg_segment_align: 8
    .kernarg_segment_size: 104
    .language:       OpenCL C
    .language_version:
      - 2
      - 0
    .max_flat_workgroup_size: 52
    .name:           bluestein_single_fwd_len234_dim1_dp_op_CI_CI
    .private_segment_fixed_size: 0
    .sgpr_count:     54
    .sgpr_spill_count: 0
    .symbol:         bluestein_single_fwd_len234_dim1_dp_op_CI_CI.kd
    .uniform_work_group_size: 1
    .uses_dynamic_stack: false
    .vgpr_count:     260
    .vgpr_spill_count: 0
    .wavefront_size: 64
amdhsa.target:   amdgcn-amd-amdhsa--gfx950
amdhsa.version:
  - 1
  - 2
...

	.end_amdgpu_metadata
